;; amdgpu-corpus repo=ROCm/rocFFT kind=compiled arch=gfx906 opt=O3
	.text
	.amdgcn_target "amdgcn-amd-amdhsa--gfx906"
	.amdhsa_code_object_version 6
	.protected	bluestein_single_back_len1936_dim1_half_op_CI_CI ; -- Begin function bluestein_single_back_len1936_dim1_half_op_CI_CI
	.globl	bluestein_single_back_len1936_dim1_half_op_CI_CI
	.p2align	8
	.type	bluestein_single_back_len1936_dim1_half_op_CI_CI,@function
bluestein_single_back_len1936_dim1_half_op_CI_CI: ; @bluestein_single_back_len1936_dim1_half_op_CI_CI
; %bb.0:
	s_load_dwordx4 s[12:15], s[4:5], 0x28
	v_mul_u32_u24_e32 v1, 0x175, v0
	v_add_u32_sdwa v21, s6, v1 dst_sel:DWORD dst_unused:UNUSED_PAD src0_sel:DWORD src1_sel:WORD_1
	v_mov_b32_e32 v22, 0
	s_waitcnt lgkmcnt(0)
	v_cmp_gt_u64_e32 vcc, s[12:13], v[21:22]
	s_and_saveexec_b64 s[0:1], vcc
	s_cbranch_execz .LBB0_31
; %bb.1:
	s_load_dwordx4 s[0:3], s[4:5], 0x18
	s_load_dwordx2 s[16:17], s[4:5], 0x0
	s_waitcnt lgkmcnt(0)
	s_load_dwordx4 s[8:11], s[0:1], 0x0
	s_movk_i32 s0, 0xb0
	v_mul_lo_u16_sdwa v1, v1, s0 dst_sel:DWORD dst_unused:UNUSED_PAD src0_sel:WORD_1 src1_sel:DWORD
	v_sub_u16_e32 v43, v0, v1
	v_lshlrev_b32_e32 v34, 2, v43
	s_waitcnt lgkmcnt(0)
	v_mad_u64_u32 v[0:1], s[0:1], s10, v21, 0
	v_mad_u64_u32 v[2:3], s[0:1], s8, v43, 0
	v_add_co_u32_e64 v19, s[6:7], s16, v34
	v_mad_u64_u32 v[4:5], s[0:1], s11, v21, v[1:2]
	global_load_dword v45, v34, s[16:17]
	v_mad_u64_u32 v[5:6], s[0:1], s9, v43, v[3:4]
	v_mov_b32_e32 v1, v4
	v_lshlrev_b64 v[0:1], 2, v[0:1]
	v_mov_b32_e32 v6, s15
	v_mov_b32_e32 v3, v5
	v_add_co_u32_e32 v4, vcc, s14, v0
	v_addc_co_u32_e32 v5, vcc, v6, v1, vcc
	v_lshlrev_b64 v[0:1], 2, v[2:3]
	s_mul_i32 s0, s9, 0x3c8
	s_mul_hi_u32 s1, s8, 0x3c8
	v_add_co_u32_e32 v0, vcc, v4, v0
	v_mov_b32_e32 v2, s17
	s_add_i32 s1, s1, s0
	s_mul_i32 s0, s8, 0x3c8
	v_addc_co_u32_e32 v1, vcc, v5, v1, vcc
	v_addc_co_u32_e64 v20, vcc, 0, v2, s[6:7]
	s_lshl_b64 s[14:15], s[0:1], 2
	v_mov_b32_e32 v4, s15
	v_add_co_u32_e32 v2, vcc, s14, v0
	v_addc_co_u32_e32 v3, vcc, v1, v4, vcc
	global_load_dword v5, v[0:1], off
	global_load_dword v6, v[2:3], off
	global_load_dword v44, v34, s[16:17] offset:3872
	s_mul_hi_u32 s1, s8, 0xfffffce8
	s_mul_i32 s0, s9, 0xfffffce8
	s_sub_i32 s1, s1, s8
	s_add_i32 s1, s1, s0
	s_mul_i32 s0, s8, 0xfffffce8
	s_lshl_b64 s[18:19], s[0:1], 2
	v_mov_b32_e32 v7, s19
	v_add_co_u32_e32 v0, vcc, s18, v2
	v_addc_co_u32_e32 v1, vcc, v3, v7, vcc
	global_load_dword v8, v[0:1], off
	global_load_dword v42, v34, s[16:17] offset:704
	v_add_co_u32_e32 v0, vcc, s14, v0
	v_addc_co_u32_e32 v1, vcc, v1, v4, vcc
	s_movk_i32 s0, 0x1000
	v_add_co_u32_e32 v2, vcc, s0, v19
	global_load_dword v9, v[0:1], off
	v_addc_co_u32_e32 v3, vcc, 0, v20, vcc
	global_load_dword v41, v[2:3], off offset:480
	v_add_co_u32_e32 v0, vcc, s18, v0
	v_addc_co_u32_e32 v1, vcc, v1, v7, vcc
	global_load_dword v10, v[0:1], off
	global_load_dword v40, v34, s[16:17] offset:1408
	v_add_co_u32_e32 v0, vcc, s14, v0
	v_addc_co_u32_e32 v1, vcc, v1, v4, vcc
	global_load_dword v11, v[0:1], off
	global_load_dword v39, v[2:3], off offset:1184
	v_add_co_u32_e32 v0, vcc, s18, v0
	v_addc_co_u32_e32 v1, vcc, v1, v7, vcc
	global_load_dword v12, v[0:1], off
	global_load_dword v38, v34, s[16:17] offset:2112
	v_add_co_u32_e32 v0, vcc, s14, v0
	v_addc_co_u32_e32 v1, vcc, v1, v4, vcc
	global_load_dword v13, v[0:1], off
	;; [unrolled: 8-line block ×3, first 2 shown]
	global_load_dword v35, v[2:3], off offset:2592
	s_load_dwordx2 s[12:13], s[4:5], 0x38
	s_load_dwordx4 s[8:11], s[2:3], 0x0
	s_movk_i32 s0, 0x58
	v_cmp_gt_u16_e64 s[0:1], s0, v43
	s_waitcnt vmcnt(18)
	v_lshrrev_b32_e32 v2, 16, v5
	v_mul_f16_sdwa v3, v45, v2 dst_sel:DWORD dst_unused:UNUSED_PAD src0_sel:WORD_1 src1_sel:DWORD
	v_fma_f16 v3, v45, v5, v3
	v_mul_f16_sdwa v5, v45, v5 dst_sel:DWORD dst_unused:UNUSED_PAD src0_sel:WORD_1 src1_sel:DWORD
	v_fma_f16 v2, v45, v2, -v5
	v_pack_b32_f16 v2, v3, v2
	s_waitcnt vmcnt(17)
	v_lshrrev_b32_e32 v3, 16, v6
	s_waitcnt vmcnt(16)
	v_mul_f16_sdwa v5, v44, v3 dst_sel:DWORD dst_unused:UNUSED_PAD src0_sel:WORD_1 src1_sel:DWORD
	v_fma_f16 v5, v44, v6, v5
	v_mul_f16_sdwa v6, v44, v6 dst_sel:DWORD dst_unused:UNUSED_PAD src0_sel:WORD_1 src1_sel:DWORD
	v_fma_f16 v3, v44, v3, -v6
	v_pack_b32_f16 v3, v5, v3
	ds_write_b32 v34, v3 offset:3872
	s_waitcnt vmcnt(15)
	v_lshrrev_b32_e32 v3, 16, v8
	s_waitcnt vmcnt(14)
	v_mul_f16_sdwa v5, v42, v3 dst_sel:DWORD dst_unused:UNUSED_PAD src0_sel:WORD_1 src1_sel:DWORD
	v_mul_f16_sdwa v6, v42, v8 dst_sel:DWORD dst_unused:UNUSED_PAD src0_sel:WORD_1 src1_sel:DWORD
	v_fma_f16 v5, v42, v8, v5
	v_fma_f16 v3, v42, v3, -v6
	v_pack_b32_f16 v3, v5, v3
	ds_write2_b32 v34, v2, v3 offset1:176
	s_waitcnt vmcnt(13)
	v_lshrrev_b32_e32 v2, 16, v9
	s_waitcnt vmcnt(12)
	v_mul_f16_sdwa v3, v41, v2 dst_sel:DWORD dst_unused:UNUSED_PAD src0_sel:WORD_1 src1_sel:DWORD
	v_mul_f16_sdwa v5, v41, v9 dst_sel:DWORD dst_unused:UNUSED_PAD src0_sel:WORD_1 src1_sel:DWORD
	v_fma_f16 v3, v41, v9, v3
	v_fma_f16 v2, v41, v2, -v5
	v_pack_b32_f16 v2, v3, v2
	s_waitcnt vmcnt(11)
	v_lshrrev_b32_e32 v3, 16, v10
	s_waitcnt vmcnt(10)
	v_mul_f16_sdwa v5, v40, v3 dst_sel:DWORD dst_unused:UNUSED_PAD src0_sel:WORD_1 src1_sel:DWORD
	v_mul_f16_sdwa v6, v40, v10 dst_sel:DWORD dst_unused:UNUSED_PAD src0_sel:WORD_1 src1_sel:DWORD
	v_fma_f16 v5, v40, v10, v5
	v_fma_f16 v3, v40, v3, -v6
	v_pack_b32_f16 v3, v5, v3
	;; [unrolled: 8-line block ×3, first 2 shown]
	v_add_u32_e32 v6, 0x1100, v34
	ds_write2_b32 v6, v2, v5 offset0:56 offset1:232
	s_waitcnt vmcnt(7)
	v_lshrrev_b32_e32 v2, 16, v12
	s_waitcnt vmcnt(6)
	v_mul_f16_sdwa v5, v38, v2 dst_sel:DWORD dst_unused:UNUSED_PAD src0_sel:WORD_1 src1_sel:DWORD
	v_mul_f16_sdwa v6, v38, v12 dst_sel:DWORD dst_unused:UNUSED_PAD src0_sel:WORD_1 src1_sel:DWORD
	v_fma_f16 v5, v38, v12, v5
	v_fma_f16 v2, v38, v2, -v6
	v_pack_b32_f16 v5, v5, v2
	v_add_u32_e32 v2, 0x500, v34
	ds_write2_b32 v2, v3, v5 offset0:32 offset1:208
	s_waitcnt vmcnt(5)
	v_lshrrev_b32_e32 v3, 16, v13
	s_waitcnt vmcnt(4)
	v_mul_f16_sdwa v5, v37, v3 dst_sel:DWORD dst_unused:UNUSED_PAD src0_sel:WORD_1 src1_sel:DWORD
	v_mul_f16_sdwa v6, v37, v13 dst_sel:DWORD dst_unused:UNUSED_PAD src0_sel:WORD_1 src1_sel:DWORD
	v_fma_f16 v5, v37, v13, v5
	v_fma_f16 v3, v37, v3, -v6
	v_pack_b32_f16 v3, v5, v3
	s_waitcnt vmcnt(3)
	v_lshrrev_b32_e32 v5, 16, v7
	s_waitcnt vmcnt(2)
	v_mul_f16_sdwa v6, v36, v5 dst_sel:DWORD dst_unused:UNUSED_PAD src0_sel:WORD_1 src1_sel:DWORD
	v_fma_f16 v6, v36, v7, v6
	v_mul_f16_sdwa v7, v36, v7 dst_sel:DWORD dst_unused:UNUSED_PAD src0_sel:WORD_1 src1_sel:DWORD
	v_fma_f16 v5, v36, v5, -v7
	v_pack_b32_f16 v5, v6, v5
	ds_write_b32 v34, v5 offset:2816
	s_waitcnt vmcnt(1)
	v_lshrrev_b32_e32 v5, 16, v4
	s_waitcnt vmcnt(0)
	v_mul_f16_sdwa v6, v35, v5 dst_sel:DWORD dst_unused:UNUSED_PAD src0_sel:WORD_1 src1_sel:DWORD
	v_fma_f16 v6, v35, v4, v6
	v_mul_f16_sdwa v4, v35, v4 dst_sel:DWORD dst_unused:UNUSED_PAD src0_sel:WORD_1 src1_sel:DWORD
	v_fma_f16 v4, v35, v5, -v4
	v_pack_b32_f16 v4, v6, v4
	v_add_u32_e32 v5, 0x1700, v34
	ds_write2_b32 v5, v3, v4 offset0:24 offset1:200
	s_and_saveexec_b64 s[2:3], s[0:1]
	s_cbranch_execz .LBB0_3
; %bb.2:
	v_mov_b32_e32 v3, s19
	v_add_co_u32_e32 v0, vcc, s18, v0
	v_addc_co_u32_e32 v1, vcc, v1, v3, vcc
	global_load_dword v3, v[0:1], off
	global_load_dword v4, v[19:20], off offset:3520
	v_mov_b32_e32 v5, s15
	v_add_co_u32_e32 v0, vcc, s14, v0
	v_addc_co_u32_e32 v1, vcc, v1, v5, vcc
	global_load_dword v5, v[0:1], off
	v_add_co_u32_e32 v0, vcc, 0x1000, v19
	v_addc_co_u32_e32 v1, vcc, 0, v20, vcc
	global_load_dword v0, v[0:1], off offset:3296
	s_waitcnt vmcnt(3)
	v_lshrrev_b32_e32 v1, 16, v3
	s_waitcnt vmcnt(2)
	v_mul_f16_sdwa v6, v4, v3 dst_sel:DWORD dst_unused:UNUSED_PAD src0_sel:WORD_1 src1_sel:DWORD
	v_mul_f16_sdwa v7, v4, v1 dst_sel:DWORD dst_unused:UNUSED_PAD src0_sel:WORD_1 src1_sel:DWORD
	v_fma_f16 v1, v4, v1, -v6
	v_fma_f16 v3, v4, v3, v7
	v_pack_b32_f16 v1, v3, v1
	ds_write_b32 v34, v1 offset:3520
	s_waitcnt vmcnt(1)
	v_lshrrev_b32_e32 v6, 16, v5
	s_waitcnt vmcnt(0)
	v_mul_f16_sdwa v8, v0, v5 dst_sel:DWORD dst_unused:UNUSED_PAD src0_sel:WORD_1 src1_sel:DWORD
	v_mul_f16_sdwa v4, v0, v6 dst_sel:DWORD dst_unused:UNUSED_PAD src0_sel:WORD_1 src1_sel:DWORD
	v_fma_f16 v6, v0, v6, -v8
	v_fma_f16 v0, v0, v5, v4
	v_pack_b32_f16 v0, v0, v6
	ds_write_b32 v34, v0 offset:7392
.LBB0_3:
	s_or_b64 exec, exec, s[2:3]
	v_add_u32_e32 v0, 0xe00, v34
	v_add_u32_e32 v6, 0x1400, v34
	s_waitcnt lgkmcnt(0)
	s_barrier
	ds_read2_b32 v[4:5], v34 offset1:176
	ds_read2_b32 v[0:1], v0 offset0:72 offset1:248
	ds_read2_b32 v[2:3], v2 offset0:32 offset1:208
	;; [unrolled: 1-line block ×3, first 2 shown]
	ds_read_b32 v8, v34 offset:2816
	ds_read_b32 v9, v34 offset:6688
                                        ; implicit-def: $vgpr14
                                        ; implicit-def: $vgpr15
	s_and_saveexec_b64 s[2:3], s[0:1]
	s_cbranch_execz .LBB0_5
; %bb.4:
	ds_read_b32 v14, v34 offset:3520
	ds_read_b32 v15, v34 offset:7392
.LBB0_5:
	s_or_b64 exec, exec, s[2:3]
	s_load_dwordx2 s[4:5], s[4:5], 0x8
	s_movk_i32 s2, 0x160
	s_waitcnt lgkmcnt(0)
	v_pk_add_f16 v16, v4, v0 neg_lo:[0,1] neg_hi:[0,1]
	v_add_co_u32_e32 v11, vcc, 0xb0, v43
	v_add_co_u32_e32 v10, vcc, s2, v43
	v_lshlrev_b32_e32 v13, 1, v43
	s_movk_i32 s2, 0x370
	v_pk_add_f16 v17, v5, v1 neg_lo:[0,1] neg_hi:[0,1]
	v_pk_add_f16 v6, v2, v6 neg_lo:[0,1] neg_hi:[0,1]
	v_pk_add_f16 v1, v14, v15 neg_lo:[0,1] neg_hi:[0,1]
	v_lshlrev_b32_e32 v48, 3, v43
	v_pk_fma_f16 v15, v4, 2.0, v16 op_sel_hi:[1,0,1] neg_lo:[0,0,1] neg_hi:[0,0,1]
	v_add_co_u32_e32 v12, vcc, s2, v43
	v_pk_add_f16 v7, v3, v7 neg_lo:[0,1] neg_hi:[0,1]
	v_pk_add_f16 v9, v8, v9 neg_lo:[0,1] neg_hi:[0,1]
	s_barrier
	ds_write_b64 v48, v[15:16]
	v_lshlrev_b32_e32 v50, 3, v11
	v_pk_fma_f16 v16, v5, 2.0, v17 op_sel_hi:[1,0,1] neg_lo:[0,0,1] neg_hi:[0,0,1]
	v_lshlrev_b32_e32 v52, 3, v10
	v_pk_fma_f16 v5, v2, 2.0, v6 op_sel_hi:[1,0,1] neg_lo:[0,0,1] neg_hi:[0,0,1]
	;; [unrolled: 2-line block ×3, first 2 shown]
	v_lshlrev_b32_e32 v15, 1, v11
	ds_write_b64 v50, v[16:17]
	v_lshlrev_b32_e32 v16, 1, v10
	ds_write_b64 v52, v[5:6]
	v_add_u32_e32 v57, 0x420, v13
	v_pk_fma_f16 v6, v3, 2.0, v7 op_sel_hi:[1,0,1] neg_lo:[0,0,1] neg_hi:[0,0,1]
	v_add_u32_e32 v58, 0x580, v13
	v_pk_fma_f16 v8, v8, 2.0, v9 op_sel_hi:[1,0,1] neg_lo:[0,0,1] neg_hi:[0,0,1]
	v_add_u32_e32 v2, 0x1000, v2
	v_lshlrev_b32_e32 v49, 3, v12
	ds_write2_b64 v2, v[6:7], v[8:9] offset0:16 offset1:192
	s_and_saveexec_b64 s[2:3], s[0:1]
	s_cbranch_execz .LBB0_7
; %bb.6:
	ds_write_b64 v49, v[0:1]
.LBB0_7:
	s_or_b64 exec, exec, s[2:3]
	v_add_u32_e32 v4, 0xe00, v34
	s_waitcnt lgkmcnt(0)
	s_barrier
	ds_read2_b32 v[6:7], v4 offset0:72 offset1:248
	v_add_u32_e32 v4, 0x500, v34
	v_add_u32_e32 v8, 0x1400, v34
	ds_read2_b32 v[2:3], v34 offset1:176
	ds_read2_b32 v[4:5], v4 offset0:32 offset1:208
	ds_read2_b32 v[8:9], v8 offset0:40 offset1:216
	ds_read_b32 v14, v34 offset:2816
	ds_read_b32 v17, v34 offset:6688
	s_and_saveexec_b64 s[2:3], s[0:1]
	s_cbranch_execz .LBB0_9
; %bb.8:
	ds_read_b32 v0, v34 offset:3520
	ds_read_b32 v1, v34 offset:7392
.LBB0_9:
	s_or_b64 exec, exec, s[2:3]
	v_and_b32_e32 v46, 1, v43
	v_lshlrev_b32_e32 v18, 2, v46
	global_load_dword v47, v18, s[4:5]
	s_movk_i32 s2, 0x1fc
	s_movk_i32 s3, 0x3fc
	s_waitcnt lgkmcnt(5)
	v_lshrrev_b32_e32 v22, 16, v6
	s_movk_i32 s14, 0x7fc
	v_and_or_b32 v13, v13, s2, v46
	v_and_or_b32 v15, v15, s3, v46
	v_lshrrev_b32_e32 v23, 16, v7
	s_waitcnt lgkmcnt(2)
	v_lshrrev_b32_e32 v26, 16, v8
	v_lshrrev_b32_e32 v28, 16, v9
	s_waitcnt lgkmcnt(0)
	v_lshrrev_b32_e32 v30, 16, v17
	v_lshrrev_b32_e32 v31, 16, v1
	v_and_or_b32 v16, v16, s14, v46
	v_and_or_b32 v33, v57, s14, v46
	v_lshlrev_b32_e32 v56, 2, v13
	v_lshlrev_b32_e32 v55, 2, v15
	v_lshrrev_b32_e32 v18, 16, v2
	v_lshlrev_b32_e32 v54, 2, v16
	v_lshlrev_b32_e32 v53, 2, v33
	v_lshrrev_b32_e32 v24, 16, v3
	v_lshrrev_b32_e32 v25, 16, v4
	;; [unrolled: 1-line block ×5, first 2 shown]
	s_waitcnt vmcnt(0)
	s_barrier
	v_mul_f16_sdwa v13, v22, v47 dst_sel:DWORD dst_unused:UNUSED_PAD src0_sel:DWORD src1_sel:WORD_1
	v_mul_f16_sdwa v15, v6, v47 dst_sel:DWORD dst_unused:UNUSED_PAD src0_sel:DWORD src1_sel:WORD_1
	;; [unrolled: 1-line block ×10, first 2 shown]
	v_fma_f16 v6, v6, v47, -v13
	v_fma_f16 v13, v22, v47, v15
	v_mul_f16_sdwa v63, v17, v47 dst_sel:DWORD dst_unused:UNUSED_PAD src0_sel:DWORD src1_sel:WORD_1
	v_mul_f16_sdwa v65, v1, v47 dst_sel:DWORD dst_unused:UNUSED_PAD src0_sel:DWORD src1_sel:WORD_1
	v_fma_f16 v7, v7, v47, -v16
	v_fma_f16 v8, v8, v47, -v51
	;; [unrolled: 1-line block ×3, first 2 shown]
	v_fma_f16 v15, v23, v47, v33
	v_fma_f16 v16, v26, v47, v59
	;; [unrolled: 1-line block ×3, first 2 shown]
	v_fma_f16 v17, v17, v47, -v62
	v_fma_f16 v1, v1, v47, -v64
	v_sub_f16_e32 v6, v2, v6
	v_sub_f16_e32 v28, v18, v13
	v_fma_f16 v23, v30, v47, v63
	v_fma_f16 v26, v31, v47, v65
	v_sub_f16_e32 v7, v3, v7
	v_sub_f16_e32 v30, v24, v15
	;; [unrolled: 1-line block ×8, first 2 shown]
	v_fma_f16 v1, v2, 2.0, -v6
	v_fma_f16 v2, v18, 2.0, -v28
	v_sub_f16_e32 v23, v29, v23
	v_fma_f16 v3, v3, 2.0, -v7
	v_fma_f16 v17, v24, 2.0, -v30
	;; [unrolled: 1-line block ×8, first 2 shown]
	v_pack_b32_f16 v0, v6, v28
	v_pack_b32_f16 v1, v1, v2
	v_sub_f16_e32 v22, v32, v26
	v_fma_f16 v9, v29, 2.0, -v23
	v_pack_b32_f16 v6, v7, v30
	v_pack_b32_f16 v7, v31, v16
	;; [unrolled: 1-line block ×6, first 2 shown]
	ds_write2_b32 v56, v1, v0 offset1:2
	ds_write2_b32 v55, v2, v6 offset1:2
	;; [unrolled: 1-line block ×4, first 2 shown]
	v_and_or_b32 v0, v58, s14, v46
	v_fma_f16 v24, v32, 2.0, -v22
	v_lshlrev_b32_e32 v60, 2, v0
	v_pack_b32_f16 v0, v8, v9
	v_pack_b32_f16 v1, v13, v23
	v_lshlrev_b32_e32 v59, 1, v12
	ds_write2_b32 v60, v0, v1 offset1:2
	s_and_saveexec_b64 s[2:3], s[0:1]
	s_cbranch_execz .LBB0_11
; %bb.10:
	v_and_or_b32 v0, v59, s14, v46
	s_mov_b32 s14, 0x5040100
	v_lshlrev_b32_e32 v0, 2, v0
	v_perm_b32 v1, v24, v14, s14
	v_perm_b32 v2, v22, v15, s14
	ds_write2_b32 v0, v1, v2 offset1:2
.LBB0_11:
	s_or_b64 exec, exec, s[2:3]
	v_add_u32_e32 v2, 0x700, v34
	v_add_u32_e32 v4, 0xe00, v34
	;; [unrolled: 1-line block ×3, first 2 shown]
	s_waitcnt lgkmcnt(0)
	s_barrier
	ds_read2_b32 v[0:1], v34 offset1:176
	ds_read2_b32 v[2:3], v2 offset0:36 offset1:212
	ds_read2_b32 v[4:5], v4 offset0:72 offset1:248
	;; [unrolled: 1-line block ×3, first 2 shown]
	s_movk_i32 s2, 0x84
	v_cmp_gt_u16_e64 s[2:3], s2, v43
	s_and_saveexec_b64 s[14:15], s[2:3]
	s_cbranch_execz .LBB0_13
; %bb.12:
	ds_read_b32 v8, v34 offset:1408
	ds_read_b32 v13, v34 offset:3344
	;; [unrolled: 1-line block ×4, first 2 shown]
	s_waitcnt lgkmcnt(3)
	v_lshrrev_b32_e32 v9, 16, v8
	s_waitcnt lgkmcnt(2)
	v_lshrrev_b32_e32 v23, 16, v13
	;; [unrolled: 2-line block ×4, first 2 shown]
.LBB0_13:
	s_or_b64 exec, exec, s[14:15]
	v_and_b32_e32 v51, 3, v43
	v_mad_u64_u32 v[16:17], s[14:15], v51, 12, s[4:5]
	s_waitcnt lgkmcnt(2)
	v_lshrrev_b32_e32 v25, 16, v2
	s_waitcnt lgkmcnt(1)
	v_lshrrev_b32_e32 v26, 16, v4
	global_load_dwordx3 v[16:18], v[16:17], off offset:8
	s_waitcnt lgkmcnt(0)
	v_lshrrev_b32_e32 v27, 16, v6
	v_lshrrev_b32_e32 v29, 16, v3
	;; [unrolled: 1-line block ×6, first 2 shown]
	s_movk_i32 s14, 0x3f0
	s_waitcnt vmcnt(0)
	s_barrier
	v_mul_f16_sdwa v32, v25, v16 dst_sel:DWORD dst_unused:UNUSED_PAD src0_sel:DWORD src1_sel:WORD_1
	v_fma_f16 v32, v2, v16, -v32
	v_mul_f16_sdwa v2, v2, v16 dst_sel:DWORD dst_unused:UNUSED_PAD src0_sel:DWORD src1_sel:WORD_1
	v_fma_f16 v25, v25, v16, v2
	v_mul_f16_sdwa v2, v26, v17 dst_sel:DWORD dst_unused:UNUSED_PAD src0_sel:DWORD src1_sel:WORD_1
	v_fma_f16 v33, v4, v17, -v2
	v_mul_f16_sdwa v2, v4, v17 dst_sel:DWORD dst_unused:UNUSED_PAD src0_sel:DWORD src1_sel:WORD_1
	v_fma_f16 v4, v26, v17, v2
	;; [unrolled: 4-line block ×6, first 2 shown]
	v_mul_f16_sdwa v2, v23, v16 dst_sel:DWORD dst_unused:UNUSED_PAD src0_sel:DWORD src1_sel:WORD_1
	v_fma_f16 v3, v13, v16, -v2
	v_mul_f16_sdwa v2, v13, v16 dst_sel:DWORD dst_unused:UNUSED_PAD src0_sel:DWORD src1_sel:WORD_1
	v_mul_f16_sdwa v13, v24, v17 dst_sel:DWORD dst_unused:UNUSED_PAD src0_sel:DWORD src1_sel:WORD_1
	v_fma_f16 v13, v14, v17, -v13
	v_mul_f16_sdwa v14, v14, v17 dst_sel:DWORD dst_unused:UNUSED_PAD src0_sel:DWORD src1_sel:WORD_1
	v_fma_f16 v2, v23, v16, v2
	v_fma_f16 v14, v24, v17, v14
	v_mul_f16_sdwa v23, v22, v18 dst_sel:DWORD dst_unused:UNUSED_PAD src0_sel:DWORD src1_sel:WORD_1
	v_sub_f16_e32 v4, v12, v4
	v_sub_f16_e32 v24, v32, v26
	v_fma_f16 v23, v15, v18, -v23
	v_mul_f16_sdwa v15, v15, v18 dst_sel:DWORD dst_unused:UNUSED_PAD src0_sel:DWORD src1_sel:WORD_1
	v_fma_f16 v26, v32, 2.0, -v24
	v_add_f16_e32 v24, v4, v24
	v_fma_f16 v15, v22, v18, v15
	v_sub_f16_e32 v22, v0, v33
	v_fma_f16 v12, v12, 2.0, -v4
	v_sub_f16_e32 v6, v25, v6
	v_fma_f16 v32, v4, 2.0, -v24
	;; [unrolled: 2-line block ×3, first 2 shown]
	v_fma_f16 v25, v25, 2.0, -v6
	v_fma_f16 v5, v28, 2.0, -v4
	v_sub_f16_e32 v28, v27, v30
	v_sub_f16_e32 v26, v0, v26
	;; [unrolled: 1-line block ×4, first 2 shown]
	v_fma_f16 v27, v27, 2.0, -v28
	v_add_f16_e32 v28, v4, v28
	v_fma_f16 v31, v0, 2.0, -v26
	v_fma_f16 v12, v12, 2.0, -v25
	v_fma_f16 v22, v22, 2.0, -v6
	v_fma_f16 v64, v4, 2.0, -v28
	v_sub_f16_e32 v4, v8, v13
	v_and_or_b32 v13, v34, s14, v51
	v_sub_f16_e32 v0, v1, v61
	v_sub_f16_e32 v7, v29, v7
	v_lshlrev_b32_e32 v62, 2, v13
	v_pack_b32_f16 v12, v31, v12
	v_pack_b32_f16 v13, v22, v32
	v_fma_f16 v1, v1, 2.0, -v0
	v_fma_f16 v29, v29, 2.0, -v7
	ds_write2_b32 v62, v12, v13 offset1:4
	v_pack_b32_f16 v12, v26, v25
	v_pack_b32_f16 v6, v6, v24
	v_sub_f16_e32 v27, v1, v27
	v_sub_f16_e32 v29, v5, v29
	;; [unrolled: 1-line block ×3, first 2 shown]
	ds_write2_b32 v62, v12, v6 offset0:8 offset1:12
	v_lshlrev_b32_e32 v6, 2, v11
	s_movk_i32 s14, 0x7f0
	v_fma_f16 v30, v1, 2.0, -v27
	v_fma_f16 v33, v5, 2.0, -v29
	;; [unrolled: 1-line block ×3, first 2 shown]
	v_and_or_b32 v6, v6, s14, v51
	v_sub_f16_e32 v0, v9, v14
	v_sub_f16_e32 v5, v3, v23
	;; [unrolled: 1-line block ×3, first 2 shown]
	v_lshlrev_b32_e32 v63, 2, v6
	v_pack_b32_f16 v6, v30, v33
	v_pack_b32_f16 v11, v61, v64
	v_sub_f16_e32 v65, v4, v1
	v_add_f16_e32 v66, v0, v5
	ds_write2_b32 v63, v6, v11 offset1:4
	v_pack_b32_f16 v6, v27, v29
	v_pack_b32_f16 v7, v7, v28
	v_lshlrev_b32_e32 v61, 2, v10
	ds_write2_b32 v63, v6, v7 offset0:8 offset1:12
	s_and_saveexec_b64 s[14:15], s[2:3]
	s_cbranch_execz .LBB0_15
; %bb.14:
	v_fma_f16 v6, v4, 2.0, -v65
	v_fma_f16 v7, v0, 2.0, -v66
	v_fma_f16 v4, v8, 2.0, -v4
	v_fma_f16 v3, v3, 2.0, -v5
	v_fma_f16 v0, v9, 2.0, -v0
	v_fma_f16 v1, v2, 2.0, -v1
	v_sub_f16_e32 v3, v4, v3
	v_sub_f16_e32 v1, v0, v1
	s_movk_i32 s16, 0xff0
	v_fma_f16 v4, v4, 2.0, -v3
	v_fma_f16 v0, v0, 2.0, -v1
	v_and_or_b32 v2, v61, s16, v51
	v_lshlrev_b32_e32 v2, 2, v2
	v_pack_b32_f16 v0, v4, v0
	v_pack_b32_f16 v4, v6, v7
	s_mov_b32 s16, 0x5040100
	ds_write2_b32 v2, v0, v4 offset1:4
	v_pack_b32_f16 v0, v3, v1
	v_perm_b32 v1, v66, v65, s16
	ds_write2_b32 v2, v0, v1 offset0:8 offset1:12
.LBB0_15:
	s_or_b64 exec, exec, s[14:15]
	v_and_b32_e32 v29, 15, v43
	v_mad_u64_u32 v[8:9], s[14:15], v29, 40, s[4:5]
	s_waitcnt lgkmcnt(0)
	s_barrier
	global_load_dwordx4 v[0:3], v[8:9], off offset:56
	global_load_dwordx4 v[4:7], v[8:9], off offset:72
	global_load_dwordx2 v[22:23], v[8:9], off offset:88
	ds_read2_b32 v[8:9], v34 offset1:176
	v_add_u32_e32 v32, 0x500, v34
	v_add_u32_e32 v28, 0xa00, v34
	;; [unrolled: 1-line block ×4, first 2 shown]
	ds_read_b32 v30, v34 offset:7040
	ds_read2_b32 v[10:11], v32 offset0:32 offset1:208
	ds_read2_b32 v[12:13], v28 offset0:64 offset1:240
	;; [unrolled: 1-line block ×3, first 2 shown]
	ds_read2_b32 v[24:25], v26 offset1:176
	s_waitcnt lgkmcnt(5)
	v_lshrrev_b32_e32 v31, 16, v9
	s_waitcnt lgkmcnt(3)
	v_lshrrev_b32_e32 v64, 16, v10
	v_lshrrev_b32_e32 v67, 16, v11
	s_waitcnt lgkmcnt(2)
	v_lshrrev_b32_e32 v68, 16, v12
	;; [unrolled: 3-line block ×4, first 2 shown]
	v_lshrrev_b32_e32 v33, 16, v30
	v_lshrrev_b32_e32 v73, 16, v25
	s_movk_i32 s14, 0x3abb
	s_movk_i32 s15, 0x36a6
	s_mov_b32 s16, 0xb08e
	s_mov_b32 s18, 0xb93d
	;; [unrolled: 1-line block ×3, first 2 shown]
	s_waitcnt vmcnt(0)
	s_barrier
	v_mul_f16_sdwa v74, v31, v0 dst_sel:DWORD dst_unused:UNUSED_PAD src0_sel:DWORD src1_sel:WORD_1
	v_mul_f16_sdwa v75, v9, v0 dst_sel:DWORD dst_unused:UNUSED_PAD src0_sel:DWORD src1_sel:WORD_1
	;; [unrolled: 1-line block ×3, first 2 shown]
	v_fma_f16 v9, v9, v0, -v74
	v_mul_f16_sdwa v77, v10, v1 dst_sel:DWORD dst_unused:UNUSED_PAD src0_sel:DWORD src1_sel:WORD_1
	v_mul_f16_sdwa v78, v67, v2 dst_sel:DWORD dst_unused:UNUSED_PAD src0_sel:DWORD src1_sel:WORD_1
	v_fma_f16 v31, v31, v0, v75
	v_fma_f16 v10, v10, v1, -v76
	v_add_f16_e32 v74, v8, v9
	v_mul_f16_sdwa v79, v11, v2 dst_sel:DWORD dst_unused:UNUSED_PAD src0_sel:DWORD src1_sel:WORD_1
	v_mul_f16_sdwa v80, v68, v3 dst_sel:DWORD dst_unused:UNUSED_PAD src0_sel:DWORD src1_sel:WORD_1
	v_fma_f16 v64, v64, v1, v77
	v_fma_f16 v11, v11, v2, -v78
	v_add_f16_sdwa v75, v8, v31 dst_sel:DWORD dst_unused:UNUSED_PAD src0_sel:WORD_1 src1_sel:DWORD
	v_add_f16_e32 v74, v74, v10
	v_mul_f16_sdwa v81, v12, v3 dst_sel:DWORD dst_unused:UNUSED_PAD src0_sel:DWORD src1_sel:WORD_1
	v_mul_f16_sdwa v82, v69, v4 dst_sel:DWORD dst_unused:UNUSED_PAD src0_sel:DWORD src1_sel:WORD_1
	v_fma_f16 v67, v67, v2, v79
	v_fma_f16 v12, v12, v3, -v80
	v_add_f16_e32 v75, v75, v64
	v_add_f16_e32 v74, v74, v11
	v_mul_f16_sdwa v83, v13, v4 dst_sel:DWORD dst_unused:UNUSED_PAD src0_sel:DWORD src1_sel:WORD_1
	v_mul_f16_sdwa v84, v70, v5 dst_sel:DWORD dst_unused:UNUSED_PAD src0_sel:DWORD src1_sel:WORD_1
	v_fma_f16 v68, v68, v3, v81
	v_fma_f16 v13, v13, v4, -v82
	v_add_f16_e32 v75, v75, v67
	;; [unrolled: 6-line block ×4, first 2 shown]
	v_add_f16_e32 v74, v74, v14
	v_mul_f16_sdwa v89, v24, v7 dst_sel:DWORD dst_unused:UNUSED_PAD src0_sel:DWORD src1_sel:WORD_1
	v_mul_f16_sdwa v90, v73, v22 dst_sel:DWORD dst_unused:UNUSED_PAD src0_sel:DWORD src1_sel:WORD_1
	;; [unrolled: 1-line block ×4, first 2 shown]
	v_fma_f16 v71, v71, v6, v87
	v_fma_f16 v24, v24, v7, -v88
	v_add_f16_e32 v75, v75, v70
	v_add_f16_e32 v74, v74, v15
	v_mul_f16_sdwa v91, v25, v22 dst_sel:DWORD dst_unused:UNUSED_PAD src0_sel:DWORD src1_sel:WORD_1
	v_fma_f16 v72, v72, v7, v89
	v_fma_f16 v25, v25, v22, -v90
	v_fma_f16 v30, v30, v23, -v92
	v_fma_f16 v33, v33, v23, v93
	v_add_f16_e32 v75, v75, v71
	v_add_f16_e32 v74, v74, v24
	v_fma_f16 v73, v73, v22, v91
	v_add_f16_e32 v76, v9, v30
	v_add_f16_e32 v77, v31, v33
	v_sub_f16_e32 v9, v9, v30
	v_sub_f16_e32 v31, v31, v33
	v_add_f16_e32 v75, v75, v72
	v_add_f16_e32 v74, v74, v25
	v_mul_f16_e32 v78, 0xb853, v31
	v_add_f16_e32 v75, v75, v73
	v_add_f16_e32 v30, v74, v30
	v_mul_f16_e32 v74, 0xb853, v9
	v_mul_f16_e32 v80, 0xbb47, v31
	v_mul_f16_e32 v82, 0xbb47, v9
	v_mul_f16_e32 v84, 0xbbeb, v31
	v_mul_f16_e32 v86, 0xbbeb, v9
	v_mul_f16_e32 v88, 0xba0c, v31
	v_mul_f16_e32 v90, 0xba0c, v9
	v_mul_f16_e32 v31, 0xb482, v31
	v_mul_f16_e32 v9, 0xb482, v9
	v_fma_f16 v79, v76, s14, -v78
	v_add_f16_e32 v33, v75, v33
	v_fma_f16 v75, v77, s14, v74
	v_fma_f16 v78, v76, s14, v78
	v_fma_f16 v74, v77, s14, -v74
	v_fma_f16 v81, v76, s15, -v80
	v_fma_f16 v83, v77, s15, v82
	v_fma_f16 v80, v76, s15, v80
	v_fma_f16 v82, v77, s15, -v82
	v_fma_f16 v85, v76, s16, -v84
	;; [unrolled: 4-line block ×4, first 2 shown]
	v_fma_f16 v31, v76, s19, v31
	v_fma_f16 v76, v77, s19, v9
	v_fma_f16 v9, v77, s19, -v9
	v_add_f16_e32 v79, v8, v79
	v_add_f16_sdwa v75, v8, v75 dst_sel:DWORD dst_unused:UNUSED_PAD src0_sel:WORD_1 src1_sel:DWORD
	v_add_f16_e32 v78, v8, v78
	v_add_f16_sdwa v74, v8, v74 dst_sel:DWORD dst_unused:UNUSED_PAD src0_sel:WORD_1 src1_sel:DWORD
	;; [unrolled: 2-line block ×10, first 2 shown]
	v_add_f16_e32 v9, v10, v25
	v_sub_f16_e32 v10, v10, v25
	v_sub_f16_e32 v25, v64, v73
	v_add_f16_e32 v77, v64, v73
	v_mul_f16_e32 v64, 0xbb47, v25
	v_fma_f16 v73, v9, s15, -v64
	v_add_f16_e32 v73, v73, v79
	v_mul_f16_e32 v79, 0xbb47, v10
	v_fma_f16 v64, v9, s15, v64
	v_add_f16_e32 v64, v64, v78
	v_fma_f16 v78, v77, s15, -v79
	v_add_f16_e32 v74, v78, v74
	v_mul_f16_e32 v78, 0xba0c, v25
	v_fma_f16 v93, v77, s15, v79
	v_fma_f16 v79, v9, s18, -v78
	v_add_f16_e32 v79, v79, v81
	v_mul_f16_e32 v81, 0xba0c, v10
	v_fma_f16 v78, v9, s18, v78
	v_add_f16_e32 v75, v93, v75
	v_fma_f16 v93, v77, s18, v81
	v_add_f16_e32 v78, v78, v80
	v_fma_f16 v80, v77, s18, -v81
	v_mul_f16_e32 v81, 0x3482, v25
	v_add_f16_e32 v80, v80, v82
	v_fma_f16 v82, v9, s19, -v81
	v_add_f16_e32 v82, v82, v85
	v_mul_f16_e32 v85, 0x3482, v10
	v_fma_f16 v81, v9, s19, v81
	v_add_f16_e32 v83, v93, v83
	v_fma_f16 v93, v77, s19, v85
	v_add_f16_e32 v81, v81, v84
	v_fma_f16 v84, v77, s19, -v85
	v_mul_f16_e32 v85, 0x3beb, v25
	v_add_f16_e32 v84, v84, v86
	v_fma_f16 v86, v9, s16, -v85
	v_add_f16_e32 v86, v86, v89
	v_mul_f16_e32 v89, 0x3beb, v10
	v_fma_f16 v85, v9, s16, v85
	v_add_f16_e32 v85, v85, v88
	v_fma_f16 v88, v77, s16, -v89
	v_mul_f16_e32 v10, 0x3853, v10
	v_add_f16_e32 v88, v88, v90
	v_mul_f16_e32 v25, 0x3853, v25
	v_fma_f16 v90, v77, s14, v10
	v_fma_f16 v10, v77, s14, -v10
	v_add_f16_e32 v87, v93, v87
	v_fma_f16 v93, v77, s16, v89
	v_fma_f16 v89, v9, s14, -v25
	v_fma_f16 v9, v9, s14, v25
	v_add_f16_e32 v8, v10, v8
	v_add_f16_e32 v10, v11, v24
	v_sub_f16_e32 v11, v11, v24
	v_sub_f16_e32 v24, v67, v72
	v_add_f16_e32 v9, v9, v31
	v_mul_f16_e32 v31, 0xbbeb, v24
	v_add_f16_e32 v25, v67, v72
	v_fma_f16 v67, v10, s16, -v31
	v_mul_f16_e32 v72, 0xbbeb, v11
	v_fma_f16 v31, v10, s16, v31
	v_add_f16_e32 v67, v67, v73
	v_fma_f16 v73, v25, s16, v72
	v_add_f16_e32 v31, v31, v64
	v_fma_f16 v64, v25, s16, -v72
	v_mul_f16_e32 v72, 0x3482, v24
	v_add_f16_e32 v64, v64, v74
	v_fma_f16 v74, v10, s19, -v72
	v_fma_f16 v72, v10, s19, v72
	v_add_f16_e32 v73, v73, v75
	v_mul_f16_e32 v75, 0x3482, v11
	v_add_f16_e32 v72, v72, v78
	v_mul_f16_e32 v78, 0x3b47, v24
	v_add_f16_e32 v74, v74, v79
	v_fma_f16 v77, v25, s19, v75
	v_fma_f16 v75, v25, s19, -v75
	v_fma_f16 v79, v10, s15, -v78
	v_fma_f16 v78, v10, s15, v78
	v_add_f16_e32 v75, v75, v80
	v_mul_f16_e32 v80, 0x3b47, v11
	v_add_f16_e32 v78, v78, v81
	v_mul_f16_e32 v81, 0xb853, v24
	v_add_f16_e32 v77, v77, v83
	v_add_f16_e32 v79, v79, v82
	v_fma_f16 v82, v25, s15, v80
	v_fma_f16 v80, v25, s15, -v80
	v_fma_f16 v83, v10, s14, -v81
	v_fma_f16 v81, v10, s14, v81
	v_mul_f16_e32 v24, 0xba0c, v24
	v_add_f16_e32 v80, v80, v84
	v_mul_f16_e32 v84, 0xb853, v11
	v_add_f16_e32 v81, v81, v85
	v_fma_f16 v85, v10, s18, -v24
	v_mul_f16_e32 v11, 0xba0c, v11
	v_fma_f16 v10, v10, s18, v24
	v_add_f16_e32 v9, v10, v9
	v_fma_f16 v10, v25, s18, -v11
	v_add_f16_e32 v8, v10, v8
	v_add_f16_e32 v10, v12, v15
	v_sub_f16_e32 v12, v12, v15
	v_sub_f16_e32 v15, v68, v71
	v_mul_f16_e32 v24, 0xba0c, v15
	v_add_f16_e32 v82, v82, v87
	v_add_f16_e32 v83, v83, v86
	v_fma_f16 v86, v25, s14, v84
	v_fma_f16 v84, v25, s14, -v84
	v_fma_f16 v87, v25, s18, v11
	v_fma_f16 v25, v10, s18, -v24
	v_add_f16_e32 v11, v68, v71
	v_add_f16_e32 v25, v25, v67
	v_mul_f16_e32 v67, 0xba0c, v12
	v_fma_f16 v24, v10, s18, v24
	v_add_f16_e32 v24, v24, v31
	v_fma_f16 v31, v11, s18, -v67
	v_add_f16_e32 v31, v31, v64
	v_mul_f16_e32 v64, 0x3beb, v15
	v_fma_f16 v68, v11, s18, v67
	v_fma_f16 v67, v10, s16, -v64
	v_fma_f16 v64, v10, s16, v64
	v_mul_f16_e32 v71, 0x3beb, v12
	v_add_f16_e32 v64, v64, v72
	v_mul_f16_e32 v72, 0xb853, v15
	v_add_f16_e32 v68, v68, v73
	v_add_f16_e32 v67, v67, v74
	v_fma_f16 v73, v11, s16, v71
	v_fma_f16 v71, v11, s16, -v71
	v_fma_f16 v74, v10, s14, -v72
	v_fma_f16 v72, v10, s14, v72
	v_add_f16_e32 v71, v71, v75
	v_mul_f16_e32 v75, 0xb853, v12
	v_add_f16_e32 v72, v72, v78
	v_mul_f16_e32 v78, 0xb482, v15
	v_add_f16_e32 v73, v73, v77
	v_add_f16_e32 v74, v74, v79
	v_fma_f16 v77, v11, s14, v75
	v_fma_f16 v75, v11, s14, -v75
	v_fma_f16 v79, v10, s19, -v78
	v_fma_f16 v78, v10, s19, v78
	v_mul_f16_e32 v15, 0x3b47, v15
	v_add_f16_e32 v75, v75, v80
	v_mul_f16_e32 v80, 0xb482, v12
	v_add_f16_e32 v78, v78, v81
	v_fma_f16 v81, v10, s15, -v15
	v_mul_f16_e32 v12, 0x3b47, v12
	v_fma_f16 v10, v10, s15, v15
	v_add_f16_e32 v9, v10, v9
	v_fma_f16 v10, v11, s15, -v12
	v_add_f16_e32 v79, v79, v83
	v_fma_f16 v83, v11, s15, v12
	v_add_f16_e32 v8, v10, v8
	v_add_f16_e32 v10, v13, v14
	v_sub_f16_e32 v12, v13, v14
	v_sub_f16_e32 v13, v69, v70
	v_mul_f16_e32 v14, 0xb482, v13
	v_fma_f16 v15, v10, s19, -v14
	v_add_f16_e32 v77, v77, v82
	v_fma_f16 v82, v11, s19, v80
	v_fma_f16 v80, v11, s19, -v80
	v_add_f16_e32 v11, v69, v70
	v_add_f16_e32 v15, v15, v25
	v_mul_f16_e32 v25, 0xb482, v12
	v_fma_f16 v14, v10, s19, v14
	v_fma_f16 v69, v11, s19, v25
	v_add_f16_e32 v14, v14, v24
	v_fma_f16 v24, v11, s19, -v25
	v_mul_f16_e32 v25, 0x3853, v13
	v_add_f16_e32 v24, v24, v31
	v_fma_f16 v31, v10, s14, -v25
	v_add_f16_e32 v31, v31, v67
	v_mul_f16_e32 v67, 0x3853, v12
	v_fma_f16 v25, v10, s14, v25
	v_add_f16_e32 v25, v25, v64
	v_fma_f16 v64, v11, s14, -v67
	v_add_f16_e32 v68, v69, v68
	v_fma_f16 v69, v11, s14, v67
	v_add_f16_e32 v67, v64, v71
	v_mul_f16_e32 v64, 0xba0c, v13
	v_fma_f16 v70, v10, s18, -v64
	v_mul_f16_e32 v71, 0xba0c, v12
	v_fma_f16 v64, v10, s18, v64
	v_add_f16_e32 v72, v64, v72
	v_fma_f16 v64, v11, s18, -v71
	v_add_f16_e32 v69, v69, v73
	v_fma_f16 v73, v11, s18, v71
	v_add_f16_e32 v71, v64, v75
	v_mul_f16_e32 v64, 0x3b47, v13
	v_add_f16_e32 v84, v84, v88
	v_add_f16_e32 v70, v70, v74
	v_fma_f16 v74, v10, s15, -v64
	v_mul_f16_e32 v75, 0x3b47, v12
	v_fma_f16 v64, v10, s15, v64
	v_add_f16_e32 v80, v80, v84
	v_add_f16_e32 v78, v64, v78
	v_fma_f16 v64, v11, s15, -v75
	v_mul_f16_e32 v13, 0xbbeb, v13
	v_add_f16_e32 v73, v73, v77
	v_fma_f16 v77, v11, s15, v75
	v_add_f16_e32 v75, v64, v80
	v_fma_f16 v64, v10, s16, -v13
	v_mul_f16_e32 v12, 0xbbeb, v12
	v_fma_f16 v10, v10, s16, v13
	v_add_f16_e32 v89, v89, v92
	v_add_f16_e32 v9, v10, v9
	v_fma_f16 v10, v11, s16, -v12
	v_add_f16_e32 v76, v90, v76
	v_add_f16_e32 v85, v85, v89
	;; [unrolled: 1-line block ×3, first 2 shown]
	v_lshrrev_b32_e32 v10, 4, v43
	v_add_f16_e32 v91, v93, v91
	v_add_f16_e32 v76, v87, v76
	;; [unrolled: 1-line block ×3, first 2 shown]
	v_mul_u32_u24_e32 v10, 0xb0, v10
	v_add_f16_e32 v86, v86, v91
	v_add_f16_e32 v76, v83, v76
	;; [unrolled: 1-line block ×4, first 2 shown]
	v_fma_f16 v64, v11, s16, v12
	v_or_b32_e32 v10, v10, v29
	v_mad_u64_u32 v[12:13], s[4:5], v43, 40, s[4:5]
	v_add_f16_e32 v82, v82, v86
	v_add_f16_e32 v76, v64, v76
	v_lshlrev_b32_e32 v64, 2, v10
	v_pack_b32_f16 v10, v30, v33
	v_pack_b32_f16 v11, v15, v68
	;; [unrolled: 1-line block ×4, first 2 shown]
	v_add_f16_e32 v77, v77, v82
	ds_write2_b32 v64, v10, v11 offset1:16
	v_pack_b32_f16 v10, v31, v69
	v_pack_b32_f16 v11, v70, v73
	ds_write2_b32 v64, v8, v9 offset0:96 offset1:112
	v_pack_b32_f16 v8, v72, v71
	v_pack_b32_f16 v9, v25, v67
	ds_write2_b32 v64, v10, v11 offset0:32 offset1:48
	;; [unrolled: 3-line block ×3, first 2 shown]
	v_pack_b32_f16 v8, v14, v24
	ds_write2_b32 v64, v10, v11 offset0:64 offset1:80
	ds_write_b32 v64, v8 offset:640
	s_waitcnt lgkmcnt(0)
	s_barrier
	global_load_dwordx4 v[8:11], v[12:13], off offset:696
	global_load_dwordx2 v[24:25], v[12:13], off offset:728
	ds_read2_b32 v[29:30], v34 offset1:176
	ds_read2_b32 v[67:68], v32 offset0:32 offset1:208
	ds_read_b32 v31, v34 offset:7040
	global_load_dwordx4 v[12:15], v[12:13], off offset:712
	s_movk_i32 s4, 0x1000
	s_waitcnt lgkmcnt(2)
	v_lshrrev_b32_e32 v33, 16, v30
	s_waitcnt lgkmcnt(1)
	v_lshrrev_b32_e32 v69, 16, v67
	v_lshrrev_b32_e32 v70, 16, v68
	s_waitcnt lgkmcnt(0)
	v_lshrrev_b32_e32 v71, 16, v31
	s_waitcnt vmcnt(2)
	v_mul_f16_sdwa v72, v33, v8 dst_sel:DWORD dst_unused:UNUSED_PAD src0_sel:DWORD src1_sel:WORD_1
	v_fma_f16 v72, v30, v8, -v72
	v_mul_f16_sdwa v30, v30, v8 dst_sel:DWORD dst_unused:UNUSED_PAD src0_sel:DWORD src1_sel:WORD_1
	v_fma_f16 v30, v33, v8, v30
	v_mul_f16_sdwa v33, v69, v9 dst_sel:DWORD dst_unused:UNUSED_PAD src0_sel:DWORD src1_sel:WORD_1
	v_fma_f16 v33, v67, v9, -v33
	v_mul_f16_sdwa v67, v67, v9 dst_sel:DWORD dst_unused:UNUSED_PAD src0_sel:DWORD src1_sel:WORD_1
	v_fma_f16 v69, v69, v9, v67
	v_mul_f16_sdwa v67, v70, v10 dst_sel:DWORD dst_unused:UNUSED_PAD src0_sel:DWORD src1_sel:WORD_1
	v_fma_f16 v73, v68, v10, -v67
	v_mul_f16_sdwa v67, v68, v10 dst_sel:DWORD dst_unused:UNUSED_PAD src0_sel:DWORD src1_sel:WORD_1
	s_waitcnt vmcnt(1)
	v_mul_f16_sdwa v68, v71, v25 dst_sel:DWORD dst_unused:UNUSED_PAD src0_sel:DWORD src1_sel:WORD_1
	v_fma_f16 v74, v31, v25, -v68
	v_mul_f16_sdwa v31, v31, v25 dst_sel:DWORD dst_unused:UNUSED_PAD src0_sel:DWORD src1_sel:WORD_1
	v_fma_f16 v71, v71, v25, v31
	v_sub_f16_e32 v75, v72, v74
	v_sub_f16_e32 v76, v30, v71
	v_add_f16_e32 v31, v72, v74
	v_add_f16_e32 v68, v30, v71
	v_mul_f16_e32 v77, 0xb853, v76
	v_mul_f16_e32 v81, 0xbb47, v76
	;; [unrolled: 1-line block ×6, first 2 shown]
	v_fma_f16 v78, v31, s14, -v77
	v_mul_f16_e32 v79, 0xb853, v75
	v_fma_f16 v77, v31, s14, v77
	v_fma_f16 v82, v31, s15, -v81
	v_mul_f16_e32 v83, 0xbb47, v75
	v_fma_f16 v81, v31, s15, v81
	;; [unrolled: 3-line block ×3, first 2 shown]
	v_fma_f16 v90, v31, s18, -v89
	v_fma_f16 v89, v31, s18, v89
	v_fma_f16 v92, v31, s19, -v76
	v_fma_f16 v76, v31, s19, v76
	v_fma_f16 v31, v68, s18, v91
	v_mul_f16_e32 v75, 0xb482, v75
	v_fma_f16 v80, v68, s14, v79
	v_fma_f16 v79, v68, s14, -v79
	v_fma_f16 v84, v68, s15, v83
	v_fma_f16 v83, v68, s15, -v83
	;; [unrolled: 2-line block ×3, first 2 shown]
	v_fma_f16 v91, v68, s18, -v91
	v_fma_f16 v93, v68, s19, v75
	v_fma_f16 v68, v68, s19, -v75
	v_add_f16_sdwa v75, v29, v30 dst_sel:DWORD dst_unused:UNUSED_PAD src0_sel:WORD_1 src1_sel:DWORD
	v_add_f16_sdwa v94, v29, v31 dst_sel:DWORD dst_unused:UNUSED_PAD src0_sel:WORD_1 src1_sel:DWORD
	ds_read2_b32 v[30:31], v28 offset0:64 offset1:240
	v_add_f16_e32 v72, v29, v72
	v_add_f16_e32 v78, v29, v78
	v_add_f16_sdwa v80, v29, v80 dst_sel:DWORD dst_unused:UNUSED_PAD src0_sel:WORD_1 src1_sel:DWORD
	v_add_f16_e32 v77, v29, v77
	v_add_f16_sdwa v79, v29, v79 dst_sel:DWORD dst_unused:UNUSED_PAD src0_sel:WORD_1 src1_sel:DWORD
	;; [unrolled: 2-line block ×6, first 2 shown]
	v_add_f16_e32 v90, v29, v90
	v_add_f16_e32 v89, v29, v89
	v_add_f16_sdwa v91, v29, v91 dst_sel:DWORD dst_unused:UNUSED_PAD src0_sel:WORD_1 src1_sel:DWORD
	v_add_f16_e32 v92, v29, v92
	v_add_f16_sdwa v93, v29, v93 dst_sel:DWORD dst_unused:UNUSED_PAD src0_sel:WORD_1 src1_sel:DWORD
	;; [unrolled: 2-line block ×3, first 2 shown]
	v_fma_f16 v70, v70, v10, v67
	s_waitcnt lgkmcnt(0)
	v_lshrrev_b32_e32 v29, 16, v30
	v_mul_f16_sdwa v67, v30, v11 dst_sel:DWORD dst_unused:UNUSED_PAD src0_sel:DWORD src1_sel:WORD_1
	v_fma_f16 v96, v29, v11, v67
	v_mul_f16_sdwa v29, v29, v11 dst_sel:DWORD dst_unused:UNUSED_PAD src0_sel:DWORD src1_sel:WORD_1
	v_fma_f16 v97, v30, v11, -v29
	ds_read2_b32 v[29:30], v27 offset0:32 offset1:208
	v_lshrrev_b32_e32 v67, 16, v31
	s_waitcnt vmcnt(0)
	v_mul_f16_sdwa v68, v67, v12 dst_sel:DWORD dst_unused:UNUSED_PAD src0_sel:DWORD src1_sel:WORD_1
	v_fma_f16 v98, v31, v12, -v68
	v_mul_f16_sdwa v31, v31, v12 dst_sel:DWORD dst_unused:UNUSED_PAD src0_sel:DWORD src1_sel:WORD_1
	v_fma_f16 v31, v67, v12, v31
	s_waitcnt lgkmcnt(0)
	v_lshrrev_b32_e32 v67, 16, v29
	v_mul_f16_sdwa v68, v29, v13 dst_sel:DWORD dst_unused:UNUSED_PAD src0_sel:DWORD src1_sel:WORD_1
	v_fma_f16 v99, v67, v13, v68
	v_mul_f16_sdwa v67, v67, v13 dst_sel:DWORD dst_unused:UNUSED_PAD src0_sel:DWORD src1_sel:WORD_1
	v_fma_f16 v29, v29, v13, -v67
	ds_read2_b32 v[67:68], v26 offset1:176
	v_lshrrev_b32_e32 v100, 16, v30
	v_mul_f16_sdwa v101, v100, v14 dst_sel:DWORD dst_unused:UNUSED_PAD src0_sel:DWORD src1_sel:WORD_1
	v_add_f16_e32 v72, v72, v33
	v_fma_f16 v101, v30, v14, -v101
	v_mul_f16_sdwa v30, v30, v14 dst_sel:DWORD dst_unused:UNUSED_PAD src0_sel:DWORD src1_sel:WORD_1
	v_add_f16_e32 v72, v72, v73
	v_fma_f16 v30, v100, v14, v30
	s_waitcnt lgkmcnt(0)
	v_lshrrev_b32_e32 v100, 16, v67
	v_mul_f16_sdwa v102, v67, v15 dst_sel:DWORD dst_unused:UNUSED_PAD src0_sel:DWORD src1_sel:WORD_1
	v_add_f16_e32 v72, v72, v97
	v_fma_f16 v102, v100, v15, v102
	v_mul_f16_sdwa v100, v100, v15 dst_sel:DWORD dst_unused:UNUSED_PAD src0_sel:DWORD src1_sel:WORD_1
	v_add_f16_e32 v72, v72, v98
	v_fma_f16 v67, v67, v15, -v100
	v_lshrrev_b32_e32 v100, 16, v68
	v_add_f16_e32 v72, v72, v29
	v_mul_f16_sdwa v103, v100, v24 dst_sel:DWORD dst_unused:UNUSED_PAD src0_sel:DWORD src1_sel:WORD_1
	v_add_f16_e32 v72, v72, v101
	v_fma_f16 v103, v68, v24, -v103
	v_add_f16_e32 v72, v72, v67
	v_add_f16_e32 v72, v72, v103
	;; [unrolled: 1-line block ×8, first 2 shown]
	v_mul_f16_sdwa v68, v68, v24 dst_sel:DWORD dst_unused:UNUSED_PAD src0_sel:DWORD src1_sel:WORD_1
	v_add_f16_e32 v74, v74, v30
	v_fma_f16 v68, v100, v24, v68
	v_add_f16_e32 v74, v74, v102
	v_add_f16_e32 v74, v74, v68
	;; [unrolled: 1-line block ×3, first 2 shown]
	v_sub_f16_e32 v68, v69, v68
	v_add_f16_e32 v71, v74, v71
	v_add_f16_e32 v74, v33, v103
	v_mul_f16_e32 v69, 0xbb47, v68
	v_sub_f16_e32 v33, v33, v103
	v_fma_f16 v100, v74, s15, -v69
	v_add_f16_e32 v78, v100, v78
	v_mul_f16_e32 v100, 0xbb47, v33
	v_fma_f16 v69, v74, s15, v69
	v_add_f16_e32 v69, v69, v77
	v_fma_f16 v77, v75, s15, -v100
	v_add_f16_e32 v77, v77, v79
	v_mul_f16_e32 v79, 0xba0c, v68
	v_fma_f16 v103, v75, s15, v100
	v_fma_f16 v100, v74, s18, -v79
	v_add_f16_e32 v82, v100, v82
	v_mul_f16_e32 v100, 0xba0c, v33
	v_fma_f16 v79, v74, s18, v79
	v_add_f16_e32 v79, v79, v81
	v_fma_f16 v81, v75, s18, -v100
	v_add_f16_e32 v81, v81, v83
	v_mul_f16_e32 v83, 0x3482, v68
	v_add_f16_e32 v80, v103, v80
	v_fma_f16 v103, v75, s18, v100
	v_fma_f16 v100, v74, s19, -v83
	v_add_f16_e32 v86, v100, v86
	v_mul_f16_e32 v100, 0x3482, v33
	v_fma_f16 v83, v74, s19, v83
	v_add_f16_e32 v83, v83, v85
	v_fma_f16 v85, v75, s19, -v100
	v_add_f16_e32 v85, v85, v87
	v_mul_f16_e32 v87, 0x3beb, v68
	v_add_f16_e32 v84, v103, v84
	v_fma_f16 v103, v75, s19, v100
	v_fma_f16 v100, v74, s16, -v87
	v_add_f16_e32 v90, v100, v90
	v_mul_f16_e32 v100, 0x3beb, v33
	v_fma_f16 v87, v74, s16, v87
	v_add_f16_e32 v87, v87, v89
	v_fma_f16 v89, v75, s16, -v100
	v_mul_f16_e32 v68, 0x3853, v68
	v_add_f16_e32 v89, v89, v91
	v_fma_f16 v91, v74, s14, -v68
	v_mul_f16_e32 v33, 0x3853, v33
	v_fma_f16 v68, v74, s14, v68
	v_add_f16_e32 v74, v73, v67
	v_sub_f16_e32 v67, v73, v67
	v_add_f16_e32 v73, v70, v102
	v_sub_f16_e32 v70, v70, v102
	v_add_f16_e32 v88, v103, v88
	v_fma_f16 v103, v75, s16, v100
	v_add_f16_e32 v91, v91, v92
	v_fma_f16 v92, v75, s14, v33
	v_fma_f16 v33, v75, s14, -v33
	v_mul_f16_e32 v75, 0xbbeb, v70
	v_add_f16_e32 v68, v68, v76
	v_fma_f16 v76, v74, s16, -v75
	v_add_f16_e32 v76, v76, v78
	v_mul_f16_e32 v78, 0xbbeb, v67
	v_fma_f16 v75, v74, s16, v75
	v_add_f16_e32 v69, v75, v69
	v_fma_f16 v75, v73, s16, -v78
	v_add_f16_e32 v75, v75, v77
	v_mul_f16_e32 v77, 0x3482, v70
	v_add_f16_e32 v92, v92, v93
	v_fma_f16 v93, v73, s16, v78
	v_fma_f16 v78, v74, s19, -v77
	v_add_f16_e32 v78, v78, v82
	v_mul_f16_e32 v82, 0x3482, v67
	v_fma_f16 v77, v74, s19, v77
	v_add_f16_e32 v77, v77, v79
	v_fma_f16 v79, v73, s19, -v82
	v_add_f16_e32 v79, v79, v81
	v_mul_f16_e32 v81, 0x3b47, v70
	v_add_f16_e32 v80, v93, v80
	v_fma_f16 v93, v73, s19, v82
	;; [unrolled: 10-line block ×3, first 2 shown]
	v_fma_f16 v86, v74, s14, -v85
	v_add_f16_e32 v86, v86, v90
	v_mul_f16_e32 v90, 0xb853, v67
	v_fma_f16 v85, v74, s14, v85
	v_mul_f16_e32 v67, 0xba0c, v67
	v_add_f16_e32 v33, v33, v95
	v_add_f16_e32 v88, v93, v88
	v_fma_f16 v93, v73, s14, v90
	v_add_f16_e32 v85, v85, v87
	v_fma_f16 v87, v73, s14, -v90
	v_mul_f16_e32 v70, 0xba0c, v70
	v_fma_f16 v90, v73, s18, v67
	v_fma_f16 v67, v73, s18, -v67
	v_add_f16_e32 v73, v96, v30
	v_sub_f16_e32 v30, v96, v30
	v_add_f16_e32 v87, v87, v89
	v_fma_f16 v89, v74, s18, -v70
	v_fma_f16 v70, v74, s18, v70
	v_add_f16_e32 v33, v67, v33
	v_add_f16_e32 v67, v97, v101
	v_mul_f16_e32 v74, 0xba0c, v30
	v_add_f16_e32 v89, v89, v91
	v_add_f16_e32 v68, v70, v68
	v_sub_f16_e32 v70, v97, v101
	v_fma_f16 v91, v67, s18, -v74
	v_add_f16_e32 v76, v91, v76
	v_mul_f16_e32 v91, 0xba0c, v70
	v_fma_f16 v74, v67, s18, v74
	v_add_f16_e32 v69, v74, v69
	v_fma_f16 v74, v73, s18, -v91
	v_add_f16_e32 v74, v74, v75
	v_mul_f16_e32 v75, 0x3beb, v30
	v_add_f16_e32 v90, v90, v92
	v_fma_f16 v92, v73, s18, v91
	v_fma_f16 v91, v67, s16, -v75
	v_add_f16_e32 v78, v91, v78
	v_mul_f16_e32 v91, 0x3beb, v70
	v_fma_f16 v75, v67, s16, v75
	v_add_f16_e32 v75, v75, v77
	v_fma_f16 v77, v73, s16, -v91
	v_add_f16_e32 v77, v77, v79
	v_mul_f16_e32 v79, 0xb853, v30
	v_add_f16_e32 v80, v92, v80
	v_fma_f16 v92, v73, s16, v91
	;; [unrolled: 10-line block ×3, first 2 shown]
	v_fma_f16 v91, v67, s19, -v83
	v_add_f16_e32 v86, v91, v86
	v_mul_f16_e32 v91, 0xb482, v70
	v_fma_f16 v83, v67, s19, v83
	v_add_f16_e32 v83, v83, v85
	v_fma_f16 v85, v73, s19, -v91
	v_mul_f16_e32 v30, 0x3b47, v30
	v_add_f16_e32 v85, v85, v87
	v_fma_f16 v87, v67, s15, -v30
	v_mul_f16_e32 v70, 0x3b47, v70
	v_add_f16_e32 v88, v92, v88
	v_fma_f16 v92, v73, s19, v91
	v_add_f16_e32 v87, v87, v89
	v_fma_f16 v89, v73, s15, v70
	v_fma_f16 v30, v67, s15, v30
	v_fma_f16 v67, v73, s15, -v70
	v_add_f16_e32 v73, v31, v99
	v_sub_f16_e32 v31, v31, v99
	v_add_f16_e32 v33, v67, v33
	v_add_f16_e32 v70, v98, v29
	v_mul_f16_e32 v67, 0xb482, v31
	v_add_f16_e32 v30, v30, v68
	v_sub_f16_e32 v29, v98, v29
	v_fma_f16 v68, v70, s19, -v67
	v_add_f16_e32 v76, v68, v76
	v_mul_f16_e32 v68, 0xb482, v29
	v_fma_f16 v67, v70, s19, v67
	v_fma_f16 v91, v73, s19, v68
	v_add_f16_e32 v67, v67, v69
	v_fma_f16 v68, v73, s19, -v68
	v_mul_f16_e32 v69, 0x3853, v31
	v_add_f16_e32 v68, v68, v74
	v_fma_f16 v74, v70, s14, -v69
	v_add_f16_e32 v74, v74, v78
	v_mul_f16_e32 v78, 0x3853, v29
	v_fma_f16 v69, v70, s14, v69
	v_add_f16_e32 v69, v69, v75
	v_fma_f16 v75, v73, s14, -v78
	v_add_f16_e32 v75, v75, v77
	v_mul_f16_e32 v77, 0xba0c, v31
	v_add_f16_e32 v80, v91, v80
	v_fma_f16 v91, v73, s14, v78
	v_fma_f16 v78, v70, s18, -v77
	v_add_f16_e32 v78, v78, v82
	v_mul_f16_e32 v82, 0xba0c, v29
	v_fma_f16 v77, v70, s18, v77
	v_add_f16_e32 v77, v77, v79
	v_fma_f16 v79, v73, s18, -v82
	v_add_f16_e32 v79, v79, v81
	v_mul_f16_e32 v81, 0x3b47, v31
	v_add_f16_e32 v84, v91, v84
	v_fma_f16 v91, v73, s18, v82
	v_fma_f16 v82, v70, s15, -v81
	v_add_f16_e32 v82, v82, v86
	v_mul_f16_e32 v86, 0x3b47, v29
	v_fma_f16 v81, v70, s15, v81
	v_add_f16_e32 v94, v103, v94
	v_add_f16_e32 v81, v81, v83
	v_fma_f16 v83, v73, s15, -v86
	v_mul_f16_e32 v31, 0xbbeb, v31
	v_mul_f16_e32 v29, 0xbbeb, v29
	v_add_f16_e32 v93, v93, v94
	v_add_f16_e32 v88, v91, v88
	v_fma_f16 v91, v73, s15, v86
	v_add_f16_e32 v83, v83, v85
	v_fma_f16 v85, v70, s16, -v31
	v_fma_f16 v86, v73, s16, v29
	v_fma_f16 v31, v70, s16, v31
	v_fma_f16 v29, v73, s16, -v29
	v_add_f16_e32 v92, v92, v93
	v_add_f16_e32 v89, v89, v90
	;; [unrolled: 1-line block ×4, first 2 shown]
	v_pack_b32_f16 v31, v72, v71
	v_pack_b32_f16 v33, v76, v80
	v_add_f16_e32 v91, v91, v92
	v_add_f16_e32 v85, v85, v87
	;; [unrolled: 1-line block ×3, first 2 shown]
	ds_write2_b32 v34, v31, v33 offset1:176
	v_pack_b32_f16 v31, v74, v84
	v_pack_b32_f16 v33, v78, v88
	ds_write2_b32 v32, v31, v33 offset0:32 offset1:208
	v_pack_b32_f16 v31, v82, v91
	v_pack_b32_f16 v33, v85, v86
	ds_write2_b32 v28, v31, v33 offset0:64 offset1:240
	v_pack_b32_f16 v28, v30, v29
	v_pack_b32_f16 v29, v81, v83
	v_mov_b32_e32 v90, s17
	ds_write2_b32 v27, v28, v29 offset0:32 offset1:208
	v_pack_b32_f16 v27, v77, v79
	v_pack_b32_f16 v28, v69, v75
	v_addc_co_u32_e64 v90, vcc, 0, v90, s[6:7]
	ds_write2_b32 v26, v27, v28 offset1:176
	v_pack_b32_f16 v26, v67, v68
	ds_write_b32 v34, v26 offset:7040
	v_add_co_u32_e32 v26, vcc, s4, v19
	v_addc_co_u32_e32 v27, vcc, 0, v90, vcc
	s_waitcnt lgkmcnt(0)
	s_barrier
	global_load_dword v30, v[26:27], off offset:3648
	s_movk_i32 s4, 0x1e40
	v_add_co_u32_e32 v26, vcc, s4, v19
	v_addc_co_u32_e32 v27, vcc, 0, v90, vcc
	s_movk_i32 s4, 0x3000
	v_add_co_u32_e32 v28, vcc, s4, v19
	v_addc_co_u32_e32 v29, vcc, 0, v90, vcc
	global_load_dword v31, v[28:29], off offset:32
	global_load_dword v71, v[28:29], off offset:736
	;; [unrolled: 1-line block ×9, first 2 shown]
	ds_read2_b32 v[28:29], v34 offset1:176
	s_waitcnt lgkmcnt(0)
	v_lshrrev_b32_e32 v69, 16, v28
	s_waitcnt vmcnt(9)
	v_mul_f16_sdwa v70, v69, v30 dst_sel:DWORD dst_unused:UNUSED_PAD src0_sel:DWORD src1_sel:WORD_1
	v_fma_f16 v70, v28, v30, -v70
	v_mul_f16_sdwa v28, v28, v30 dst_sel:DWORD dst_unused:UNUSED_PAD src0_sel:DWORD src1_sel:WORD_1
	v_fma_f16 v28, v69, v30, v28
	v_pack_b32_f16 v28, v70, v28
	ds_write_b32 v34, v28
	v_add_u32_e32 v30, 0xe00, v34
	ds_read2_b32 v[69:70], v30 offset0:72 offset1:248
	s_waitcnt lgkmcnt(0)
	v_lshrrev_b32_e32 v28, 16, v69
	s_waitcnt vmcnt(6)
	v_mul_f16_sdwa v78, v28, v33 dst_sel:DWORD dst_unused:UNUSED_PAD src0_sel:DWORD src1_sel:WORD_1
	v_fma_f16 v78, v69, v33, -v78
	v_mul_f16_sdwa v69, v69, v33 dst_sel:DWORD dst_unused:UNUSED_PAD src0_sel:DWORD src1_sel:WORD_1
	v_fma_f16 v28, v28, v33, v69
	v_pack_b32_f16 v33, v78, v28
	v_lshrrev_b32_e32 v28, 16, v29
	s_waitcnt vmcnt(5)
	v_mul_f16_sdwa v69, v28, v72 dst_sel:DWORD dst_unused:UNUSED_PAD src0_sel:DWORD src1_sel:WORD_1
	v_fma_f16 v69, v29, v72, -v69
	v_mul_f16_sdwa v29, v29, v72 dst_sel:DWORD dst_unused:UNUSED_PAD src0_sel:DWORD src1_sel:WORD_1
	v_fma_f16 v28, v28, v72, v29
	v_pack_b32_f16 v72, v69, v28
	v_lshrrev_b32_e32 v69, 16, v70
	v_mul_f16_sdwa v28, v69, v31 dst_sel:DWORD dst_unused:UNUSED_PAD src0_sel:DWORD src1_sel:WORD_1
	v_fma_f16 v78, v70, v31, -v28
	ds_read2_b32 v[28:29], v32 offset0:32 offset1:208
	v_mul_f16_sdwa v70, v70, v31 dst_sel:DWORD dst_unused:UNUSED_PAD src0_sel:DWORD src1_sel:WORD_1
	v_fma_f16 v31, v69, v31, v70
	v_pack_b32_f16 v31, v78, v31
	ds_write2_b32 v30, v33, v31 offset0:72 offset1:248
	s_waitcnt lgkmcnt(1)
	v_lshrrev_b32_e32 v31, 16, v28
	s_waitcnt vmcnt(4)
	v_mul_f16_sdwa v33, v31, v73 dst_sel:DWORD dst_unused:UNUSED_PAD src0_sel:DWORD src1_sel:WORD_1
	v_fma_f16 v78, v28, v73, -v33
	v_add_u32_e32 v33, 0x1400, v34
	ds_read2_b32 v[69:70], v33 offset0:40 offset1:216
	v_mul_f16_sdwa v28, v28, v73 dst_sel:DWORD dst_unused:UNUSED_PAD src0_sel:DWORD src1_sel:WORD_1
	v_fma_f16 v28, v31, v73, v28
	v_pack_b32_f16 v28, v78, v28
	v_add_u32_e32 v31, 0x200, v34
	ds_write2_b32 v31, v72, v28 offset0:48 offset1:224
	s_waitcnt lgkmcnt(1)
	v_lshrrev_b32_e32 v28, 16, v69
	v_mul_f16_sdwa v31, v28, v71 dst_sel:DWORD dst_unused:UNUSED_PAD src0_sel:DWORD src1_sel:WORD_1
	v_fma_f16 v31, v69, v71, -v31
	v_mul_f16_sdwa v69, v69, v71 dst_sel:DWORD dst_unused:UNUSED_PAD src0_sel:DWORD src1_sel:WORD_1
	v_fma_f16 v28, v28, v71, v69
	v_pack_b32_f16 v28, v31, v28
	v_lshrrev_b32_e32 v31, 16, v29
	s_waitcnt vmcnt(3)
	v_mul_f16_sdwa v69, v31, v74 dst_sel:DWORD dst_unused:UNUSED_PAD src0_sel:DWORD src1_sel:WORD_1
	v_fma_f16 v69, v29, v74, -v69
	v_mul_f16_sdwa v29, v29, v74 dst_sel:DWORD dst_unused:UNUSED_PAD src0_sel:DWORD src1_sel:WORD_1
	v_fma_f16 v29, v31, v74, v29
	v_lshrrev_b32_e32 v31, 16, v70
	v_pack_b32_f16 v29, v69, v29
	s_waitcnt vmcnt(2)
	v_mul_f16_sdwa v69, v31, v75 dst_sel:DWORD dst_unused:UNUSED_PAD src0_sel:DWORD src1_sel:WORD_1
	ds_read_b32 v71, v34 offset:2816
	v_fma_f16 v69, v70, v75, -v69
	v_mul_f16_sdwa v70, v70, v75 dst_sel:DWORD dst_unused:UNUSED_PAD src0_sel:DWORD src1_sel:WORD_1
	v_fma_f16 v31, v31, v75, v70
	v_pack_b32_f16 v31, v69, v31
	ds_write2_b32 v33, v28, v31 offset0:40 offset1:216
	ds_read_b32 v28, v34 offset:6688
	s_waitcnt lgkmcnt(2)
	v_lshrrev_b32_e32 v31, 16, v71
	s_waitcnt vmcnt(1)
	v_mul_f16_sdwa v69, v31, v76 dst_sel:DWORD dst_unused:UNUSED_PAD src0_sel:DWORD src1_sel:WORD_1
	v_mul_f16_sdwa v70, v71, v76 dst_sel:DWORD dst_unused:UNUSED_PAD src0_sel:DWORD src1_sel:WORD_1
	v_fma_f16 v69, v71, v76, -v69
	v_fma_f16 v31, v31, v76, v70
	v_pack_b32_f16 v31, v69, v31
	v_add_u32_e32 v69, 0x800, v34
	ds_write2_b32 v69, v29, v31 offset0:16 offset1:192
	s_waitcnt lgkmcnt(1)
	v_lshrrev_b32_e32 v29, 16, v28
	s_waitcnt vmcnt(0)
	v_mul_f16_sdwa v31, v29, v77 dst_sel:DWORD dst_unused:UNUSED_PAD src0_sel:DWORD src1_sel:WORD_1
	v_fma_f16 v31, v28, v77, -v31
	v_mul_f16_sdwa v28, v28, v77 dst_sel:DWORD dst_unused:UNUSED_PAD src0_sel:DWORD src1_sel:WORD_1
	v_fma_f16 v28, v29, v77, v28
	v_pack_b32_f16 v28, v31, v28
	ds_write_b32 v34, v28 offset:6688
	s_and_saveexec_b64 s[4:5], s[0:1]
	s_cbranch_execz .LBB0_17
; %bb.16:
	global_load_dword v28, v[26:27], off offset:3520
	v_add_co_u32_e32 v26, vcc, 0x1000, v26
	v_addc_co_u32_e32 v27, vcc, 0, v27, vcc
	global_load_dword v26, v[26:27], off offset:3296
	ds_read_b32 v27, v34 offset:3520
	ds_read_b32 v29, v34 offset:7392
	s_waitcnt lgkmcnt(1)
	v_lshrrev_b32_e32 v31, 16, v27
	s_waitcnt lgkmcnt(0)
	v_lshrrev_b32_e32 v69, 16, v29
	s_waitcnt vmcnt(1)
	v_mul_f16_sdwa v70, v31, v28 dst_sel:DWORD dst_unused:UNUSED_PAD src0_sel:DWORD src1_sel:WORD_1
	v_mul_f16_sdwa v71, v27, v28 dst_sel:DWORD dst_unused:UNUSED_PAD src0_sel:DWORD src1_sel:WORD_1
	v_fma_f16 v27, v27, v28, -v70
	v_fma_f16 v28, v31, v28, v71
	v_pack_b32_f16 v27, v27, v28
	s_waitcnt vmcnt(0)
	v_mul_f16_sdwa v28, v69, v26 dst_sel:DWORD dst_unused:UNUSED_PAD src0_sel:DWORD src1_sel:WORD_1
	v_mul_f16_sdwa v31, v29, v26 dst_sel:DWORD dst_unused:UNUSED_PAD src0_sel:DWORD src1_sel:WORD_1
	ds_write_b32 v34, v27 offset:3520
	v_fma_f16 v27, v29, v26, -v28
	v_fma_f16 v26, v69, v26, v31
	v_pack_b32_f16 v26, v27, v26
	ds_write_b32 v34, v26 offset:7392
.LBB0_17:
	s_or_b64 exec, exec, s[4:5]
	s_waitcnt lgkmcnt(0)
	s_barrier
	ds_read2_b32 v[28:29], v34 offset1:176
	ds_read2_b32 v[30:31], v30 offset0:72 offset1:248
	ds_read2_b32 v[26:27], v32 offset0:32 offset1:208
	;; [unrolled: 1-line block ×3, first 2 shown]
	ds_read_b32 v70, v34 offset:2816
	ds_read_b32 v72, v34 offset:6688
	v_lshlrev_b32_e32 v71, 2, v57
	v_lshlrev_b32_e32 v69, 2, v58
	s_and_saveexec_b64 s[4:5], s[0:1]
	s_cbranch_execz .LBB0_19
; %bb.18:
	ds_read_b32 v67, v34 offset:3520
	ds_read_b32 v65, v34 offset:7392
	s_waitcnt lgkmcnt(1)
	v_lshrrev_b32_e32 v68, 16, v67
	s_waitcnt lgkmcnt(0)
	v_lshrrev_b32_e32 v66, 16, v65
.LBB0_19:
	s_or_b64 exec, exec, s[4:5]
	s_waitcnt lgkmcnt(4)
	v_pk_add_f16 v73, v28, v30 neg_lo:[0,1] neg_hi:[0,1]
	v_pk_add_f16 v30, v29, v31 neg_lo:[0,1] neg_hi:[0,1]
	s_waitcnt lgkmcnt(2)
	v_pk_add_f16 v31, v26, v32 neg_lo:[0,1] neg_hi:[0,1]
	v_pk_add_f16 v32, v27, v33 neg_lo:[0,1] neg_hi:[0,1]
	s_waitcnt lgkmcnt(0)
	v_pk_add_f16 v33, v70, v72 neg_lo:[0,1] neg_hi:[0,1]
	v_pk_fma_f16 v72, v28, 2.0, v73 op_sel_hi:[1,0,1] neg_lo:[0,0,1] neg_hi:[0,0,1]
	v_pk_fma_f16 v29, v29, 2.0, v30 op_sel_hi:[1,0,1] neg_lo:[0,0,1] neg_hi:[0,0,1]
	s_barrier
	ds_write_b64 v48, v[72:73]
	ds_write_b64 v50, v[29:30]
	v_pk_fma_f16 v30, v26, 2.0, v31 op_sel_hi:[1,0,1] neg_lo:[0,0,1] neg_hi:[0,0,1]
	v_sub_f16_e32 v58, v67, v65
	v_sub_f16_e32 v66, v68, v66
	ds_write_b64 v52, v[30:31]
	v_pk_fma_f16 v31, v27, 2.0, v32 op_sel_hi:[1,0,1] neg_lo:[0,0,1] neg_hi:[0,0,1]
	v_fma_f16 v57, v67, 2.0, -v58
	v_fma_f16 v65, v68, 2.0, -v66
	ds_write_b64 v71, v[31:32]
	v_pk_fma_f16 v32, v70, 2.0, v33 op_sel_hi:[1,0,1] neg_lo:[0,0,1] neg_hi:[0,0,1]
	ds_write_b64 v69, v[32:33]
	s_and_saveexec_b64 s[4:5], s[0:1]
	s_cbranch_execz .LBB0_21
; %bb.20:
	s_mov_b32 s6, 0x5040100
	v_perm_b32 v27, v66, v58, s6
	v_perm_b32 v26, v65, v57, s6
	ds_write_b64 v49, v[26:27]
.LBB0_21:
	s_or_b64 exec, exec, s[4:5]
	v_add_u32_e32 v26, 0xe00, v34
	s_waitcnt lgkmcnt(0)
	s_barrier
	ds_read2_b32 v[32:33], v26 offset0:72 offset1:248
	v_add_u32_e32 v26, 0x500, v34
	v_add_u32_e32 v30, 0x1400, v34
	ds_read2_b32 v[28:29], v34 offset1:176
	ds_read2_b32 v[26:27], v26 offset0:32 offset1:208
	ds_read2_b32 v[30:31], v30 offset0:40 offset1:216
	ds_read_b32 v49, v34 offset:2816
	ds_read_b32 v48, v34 offset:6688
	s_and_saveexec_b64 s[4:5], s[0:1]
	s_cbranch_execz .LBB0_23
; %bb.22:
	ds_read_b32 v57, v34 offset:3520
	ds_read_b32 v58, v34 offset:7392
	s_waitcnt lgkmcnt(1)
	v_lshrrev_b32_e32 v65, 16, v57
	s_waitcnt lgkmcnt(0)
	v_lshrrev_b32_e32 v66, 16, v58
.LBB0_23:
	s_or_b64 exec, exec, s[4:5]
	s_waitcnt lgkmcnt(5)
	v_lshrrev_b32_e32 v52, 16, v32
	v_mul_f16_sdwa v75, v47, v52 dst_sel:DWORD dst_unused:UNUSED_PAD src0_sel:WORD_1 src1_sel:DWORD
	v_lshrrev_b32_e32 v68, 16, v33
	v_fma_f16 v75, v47, v32, v75
	v_mul_f16_sdwa v32, v47, v32 dst_sel:DWORD dst_unused:UNUSED_PAD src0_sel:WORD_1 src1_sel:DWORD
	v_fma_f16 v32, v47, v52, -v32
	v_mul_f16_sdwa v52, v47, v68 dst_sel:DWORD dst_unused:UNUSED_PAD src0_sel:WORD_1 src1_sel:DWORD
	s_waitcnt lgkmcnt(2)
	v_lshrrev_b32_e32 v70, 16, v30
	v_fma_f16 v52, v47, v33, v52
	v_mul_f16_sdwa v33, v47, v33 dst_sel:DWORD dst_unused:UNUSED_PAD src0_sel:WORD_1 src1_sel:DWORD
	v_fma_f16 v33, v47, v68, -v33
	v_mul_f16_sdwa v68, v47, v70 dst_sel:DWORD dst_unused:UNUSED_PAD src0_sel:WORD_1 src1_sel:DWORD
	v_lshrrev_b32_e32 v72, 16, v31
	v_fma_f16 v68, v47, v30, v68
	v_mul_f16_sdwa v30, v47, v30 dst_sel:DWORD dst_unused:UNUSED_PAD src0_sel:WORD_1 src1_sel:DWORD
	v_fma_f16 v30, v47, v70, -v30
	v_mul_f16_sdwa v70, v47, v72 dst_sel:DWORD dst_unused:UNUSED_PAD src0_sel:WORD_1 src1_sel:DWORD
	s_waitcnt lgkmcnt(0)
	v_lshrrev_b32_e32 v74, 16, v48
	v_fma_f16 v70, v47, v31, v70
	v_mul_f16_sdwa v31, v47, v31 dst_sel:DWORD dst_unused:UNUSED_PAD src0_sel:WORD_1 src1_sel:DWORD
	v_fma_f16 v31, v47, v72, -v31
	v_mul_f16_sdwa v72, v47, v74 dst_sel:DWORD dst_unused:UNUSED_PAD src0_sel:WORD_1 src1_sel:DWORD
	v_fma_f16 v72, v47, v48, v72
	v_mul_f16_sdwa v48, v47, v48 dst_sel:DWORD dst_unused:UNUSED_PAD src0_sel:WORD_1 src1_sel:DWORD
	v_fma_f16 v74, v47, v74, -v48
	v_mul_f16_sdwa v48, v47, v66 dst_sel:DWORD dst_unused:UNUSED_PAD src0_sel:WORD_1 src1_sel:DWORD
	v_lshrrev_b32_e32 v50, 16, v28
	v_fma_f16 v76, v47, v58, v48
	v_mul_f16_sdwa v48, v47, v58 dst_sel:DWORD dst_unused:UNUSED_PAD src0_sel:WORD_1 src1_sel:DWORD
	v_lshrrev_b32_e32 v67, 16, v29
	v_fma_f16 v58, v47, v66, -v48
	v_sub_f16_e32 v66, v28, v75
	v_sub_f16_e32 v32, v50, v32
	v_lshrrev_b32_e32 v69, 16, v26
	v_fma_f16 v28, v28, 2.0, -v66
	v_fma_f16 v75, v50, 2.0, -v32
	v_sub_f16_e32 v77, v29, v52
	v_sub_f16_e32 v33, v67, v33
	v_lshrrev_b32_e32 v71, 16, v27
	v_fma_f16 v29, v29, 2.0, -v77
	v_fma_f16 v67, v67, 2.0, -v33
	v_sub_f16_e32 v68, v26, v68
	v_sub_f16_e32 v30, v69, v30
	v_pack_b32_f16 v28, v28, v75
	v_pack_b32_f16 v32, v66, v32
	v_lshrrev_b32_e32 v73, 16, v49
	v_fma_f16 v26, v26, 2.0, -v68
	v_fma_f16 v69, v69, 2.0, -v30
	v_sub_f16_e32 v70, v27, v70
	v_sub_f16_e32 v31, v71, v31
	s_barrier
	ds_write2_b32 v56, v28, v32 offset1:2
	v_pack_b32_f16 v28, v29, v67
	v_pack_b32_f16 v29, v77, v33
	v_fma_f16 v27, v27, 2.0, -v70
	v_fma_f16 v71, v71, 2.0, -v31
	v_sub_f16_e32 v48, v49, v72
	v_sub_f16_e32 v52, v73, v74
	ds_write2_b32 v55, v28, v29 offset1:2
	v_pack_b32_f16 v26, v26, v69
	v_pack_b32_f16 v28, v68, v30
	v_fma_f16 v47, v49, 2.0, -v48
	v_fma_f16 v49, v73, 2.0, -v52
	v_sub_f16_e32 v50, v57, v76
	v_sub_f16_e32 v58, v65, v58
	ds_write2_b32 v54, v26, v28 offset1:2
	v_pack_b32_f16 v26, v27, v71
	v_pack_b32_f16 v27, v70, v31
	v_fma_f16 v57, v57, 2.0, -v50
	v_fma_f16 v65, v65, 2.0, -v58
	ds_write2_b32 v53, v26, v27 offset1:2
	v_pack_b32_f16 v26, v47, v49
	v_pack_b32_f16 v27, v48, v52
	ds_write2_b32 v60, v26, v27 offset1:2
	s_and_saveexec_b64 s[4:5], s[0:1]
	s_cbranch_execz .LBB0_25
; %bb.24:
	s_movk_i32 s6, 0x7fc
	v_and_or_b32 v26, v59, s6, v46
	s_mov_b32 s6, 0x5040100
	v_lshlrev_b32_e32 v26, 2, v26
	v_perm_b32 v27, v65, v57, s6
	v_perm_b32 v28, v58, v50, s6
	ds_write2_b32 v26, v27, v28 offset1:2
.LBB0_25:
	s_or_b64 exec, exec, s[4:5]
	v_add_u32_e32 v28, 0x700, v34
	v_add_u32_e32 v30, 0xe00, v34
	;; [unrolled: 1-line block ×3, first 2 shown]
	s_waitcnt lgkmcnt(0)
	s_barrier
	ds_read2_b32 v[26:27], v34 offset1:176
	ds_read2_b32 v[28:29], v28 offset0:36 offset1:212
	ds_read2_b32 v[30:31], v30 offset0:72 offset1:248
	;; [unrolled: 1-line block ×3, first 2 shown]
	s_and_saveexec_b64 s[4:5], s[2:3]
	s_cbranch_execz .LBB0_27
; %bb.26:
	ds_read_b32 v47, v34 offset:1408
	ds_read_b32 v48, v34 offset:3344
	;; [unrolled: 1-line block ×4, first 2 shown]
	s_waitcnt lgkmcnt(3)
	v_lshrrev_b32_e32 v49, 16, v47
	s_waitcnt lgkmcnt(2)
	v_lshrrev_b32_e32 v52, 16, v48
	;; [unrolled: 2-line block ×4, first 2 shown]
.LBB0_27:
	s_or_b64 exec, exec, s[4:5]
	s_waitcnt lgkmcnt(2)
	v_lshrrev_b32_e32 v53, 16, v28
	v_mul_f16_sdwa v67, v16, v53 dst_sel:DWORD dst_unused:UNUSED_PAD src0_sel:WORD_1 src1_sel:DWORD
	s_waitcnt lgkmcnt(1)
	v_lshrrev_b32_e32 v54, 16, v30
	v_fma_f16 v67, v16, v28, v67
	v_mul_f16_sdwa v28, v16, v28 dst_sel:DWORD dst_unused:UNUSED_PAD src0_sel:WORD_1 src1_sel:DWORD
	v_fma_f16 v28, v16, v53, -v28
	v_mul_f16_sdwa v53, v17, v54 dst_sel:DWORD dst_unused:UNUSED_PAD src0_sel:WORD_1 src1_sel:DWORD
	s_waitcnt lgkmcnt(0)
	v_lshrrev_b32_e32 v55, 16, v32
	v_fma_f16 v53, v17, v30, v53
	v_mul_f16_sdwa v30, v17, v30 dst_sel:DWORD dst_unused:UNUSED_PAD src0_sel:WORD_1 src1_sel:DWORD
	v_fma_f16 v30, v17, v54, -v30
	v_mul_f16_sdwa v54, v18, v55 dst_sel:DWORD dst_unused:UNUSED_PAD src0_sel:WORD_1 src1_sel:DWORD
	v_lshrrev_b32_e32 v59, 16, v29
	v_fma_f16 v54, v18, v32, v54
	v_mul_f16_sdwa v32, v18, v32 dst_sel:DWORD dst_unused:UNUSED_PAD src0_sel:WORD_1 src1_sel:DWORD
	v_fma_f16 v32, v18, v55, -v32
	v_mul_f16_sdwa v55, v16, v59 dst_sel:DWORD dst_unused:UNUSED_PAD src0_sel:WORD_1 src1_sel:DWORD
	;; [unrolled: 5-line block ×3, first 2 shown]
	v_lshrrev_b32_e32 v66, 16, v33
	v_fma_f16 v59, v17, v31, v59
	v_mul_f16_sdwa v31, v17, v31 dst_sel:DWORD dst_unused:UNUSED_PAD src0_sel:WORD_1 src1_sel:DWORD
	v_lshrrev_b32_e32 v46, 16, v26
	v_fma_f16 v31, v17, v60, -v31
	v_mul_f16_sdwa v60, v18, v66 dst_sel:DWORD dst_unused:UNUSED_PAD src0_sel:WORD_1 src1_sel:DWORD
	v_fma_f16 v60, v18, v33, v60
	v_mul_f16_sdwa v33, v18, v33 dst_sel:DWORD dst_unused:UNUSED_PAD src0_sel:WORD_1 src1_sel:DWORD
	v_sub_f16_e32 v53, v26, v53
	v_sub_f16_e32 v30, v46, v30
	v_sub_f16_e32 v54, v67, v54
	v_sub_f16_e32 v32, v28, v32
	v_lshrrev_b32_e32 v56, 16, v27
	v_fma_f16 v33, v18, v66, -v33
	v_fma_f16 v26, v26, 2.0, -v53
	v_fma_f16 v46, v46, 2.0, -v30
	;; [unrolled: 1-line block ×4, first 2 shown]
	v_sub_f16_e32 v66, v26, v66
	v_sub_f16_e32 v28, v46, v28
	v_add_f16_e32 v32, v53, v32
	v_sub_f16_e32 v54, v30, v54
	v_sub_f16_e32 v59, v27, v59
	;; [unrolled: 1-line block ×5, first 2 shown]
	v_fma_f16 v26, v26, 2.0, -v66
	v_fma_f16 v46, v46, 2.0, -v28
	;; [unrolled: 1-line block ×8, first 2 shown]
	v_sub_f16_e32 v55, v27, v55
	v_sub_f16_e32 v29, v56, v29
	v_add_f16_e32 v33, v59, v33
	v_sub_f16_e32 v60, v31, v60
	v_pack_b32_f16 v26, v26, v46
	v_pack_b32_f16 v30, v53, v30
	v_fma_f16 v27, v27, 2.0, -v55
	v_fma_f16 v56, v56, 2.0, -v29
	;; [unrolled: 1-line block ×4, first 2 shown]
	s_barrier
	ds_write2_b32 v62, v26, v30 offset1:4
	v_pack_b32_f16 v26, v66, v28
	v_pack_b32_f16 v28, v32, v54
	ds_write2_b32 v62, v26, v28 offset0:8 offset1:12
	v_pack_b32_f16 v26, v27, v56
	v_pack_b32_f16 v27, v59, v31
	ds_write2_b32 v63, v26, v27 offset1:4
	v_pack_b32_f16 v26, v55, v29
	v_pack_b32_f16 v27, v33, v60
	ds_write2_b32 v63, v26, v27 offset0:8 offset1:12
	s_and_saveexec_b64 s[4:5], s[2:3]
	s_cbranch_execz .LBB0_29
; %bb.28:
	v_mul_f16_sdwa v26, v17, v65 dst_sel:DWORD dst_unused:UNUSED_PAD src0_sel:WORD_1 src1_sel:DWORD
	v_mul_f16_sdwa v31, v17, v57 dst_sel:DWORD dst_unused:UNUSED_PAD src0_sel:WORD_1 src1_sel:DWORD
	v_fma_f16 v26, v17, v57, v26
	v_mul_f16_sdwa v27, v16, v48 dst_sel:DWORD dst_unused:UNUSED_PAD src0_sel:WORD_1 src1_sel:DWORD
	v_mul_f16_sdwa v28, v18, v50 dst_sel:DWORD dst_unused:UNUSED_PAD src0_sel:WORD_1 src1_sel:DWORD
	v_fma_f16 v17, v17, v65, -v31
	v_mul_f16_sdwa v31, v16, v52 dst_sel:DWORD dst_unused:UNUSED_PAD src0_sel:WORD_1 src1_sel:DWORD
	v_fma_f16 v27, v16, v52, -v27
	v_fma_f16 v28, v18, v58, -v28
	v_fma_f16 v16, v16, v48, v31
	v_mul_f16_sdwa v31, v18, v58 dst_sel:DWORD dst_unused:UNUSED_PAD src0_sel:WORD_1 src1_sel:DWORD
	v_sub_f16_e32 v26, v47, v26
	v_sub_f16_e32 v28, v27, v28
	v_fma_f16 v18, v18, v50, v31
	v_add_f16_e32 v29, v26, v28
	v_sub_f16_e32 v18, v16, v18
	v_fma_f16 v30, v26, 2.0, -v29
	v_sub_f16_e32 v17, v49, v17
	v_fma_f16 v26, v47, 2.0, -v26
	v_fma_f16 v16, v16, 2.0, -v18
	v_sub_f16_e32 v31, v17, v18
	v_sub_f16_e32 v16, v26, v16
	v_fma_f16 v32, v17, 2.0, -v31
	v_fma_f16 v18, v26, 2.0, -v16
	;; [unrolled: 1-line block ×4, first 2 shown]
	v_sub_f16_e32 v26, v17, v26
	s_movk_i32 s2, 0xff0
	v_fma_f16 v17, v17, 2.0, -v26
	v_and_or_b32 v27, v61, s2, v51
	v_lshlrev_b32_e32 v27, 2, v27
	v_pack_b32_f16 v17, v18, v17
	v_pack_b32_f16 v18, v30, v32
	ds_write2_b32 v27, v17, v18 offset1:4
	v_pack_b32_f16 v16, v16, v26
	v_pack_b32_f16 v17, v29, v31
	ds_write2_b32 v27, v16, v17 offset0:8 offset1:12
.LBB0_29:
	s_or_b64 exec, exec, s[4:5]
	s_waitcnt lgkmcnt(0)
	s_barrier
	ds_read2_b32 v[27:28], v34 offset1:176
	v_add_u32_e32 v16, 0x500, v34
	ds_read2_b32 v[29:30], v16 offset0:32 offset1:208
	v_add_u32_e32 v17, 0xa00, v34
	ds_read2_b32 v[31:32], v17 offset0:64 offset1:240
	s_waitcnt lgkmcnt(2)
	v_lshrrev_b32_e32 v33, 16, v28
	v_mul_f16_sdwa v60, v0, v33 dst_sel:DWORD dst_unused:UNUSED_PAD src0_sel:WORD_1 src1_sel:DWORD
	s_waitcnt lgkmcnt(1)
	v_lshrrev_b32_e32 v50, 16, v29
	v_fma_f16 v60, v0, v28, v60
	v_mul_f16_sdwa v28, v0, v28 dst_sel:DWORD dst_unused:UNUSED_PAD src0_sel:WORD_1 src1_sel:DWORD
	v_fma_f16 v0, v0, v33, -v28
	v_mul_f16_sdwa v28, v1, v50 dst_sel:DWORD dst_unused:UNUSED_PAD src0_sel:WORD_1 src1_sel:DWORD
	v_lshrrev_b32_e32 v51, 16, v30
	v_add_u32_e32 v18, 0x1000, v34
	v_fma_f16 v28, v1, v29, v28
	v_mul_f16_sdwa v29, v1, v29 dst_sel:DWORD dst_unused:UNUSED_PAD src0_sel:WORD_1 src1_sel:DWORD
	ds_read2_b32 v[46:47], v18 offset0:32 offset1:208
	v_fma_f16 v1, v1, v50, -v29
	v_mul_f16_sdwa v29, v2, v51 dst_sel:DWORD dst_unused:UNUSED_PAD src0_sel:WORD_1 src1_sel:DWORD
	s_waitcnt lgkmcnt(1)
	v_lshrrev_b32_e32 v52, 16, v31
	v_add_u32_e32 v26, 0x1600, v34
	v_fma_f16 v29, v2, v30, v29
	v_mul_f16_sdwa v30, v2, v30 dst_sel:DWORD dst_unused:UNUSED_PAD src0_sel:WORD_1 src1_sel:DWORD
	ds_read2_b32 v[48:49], v26 offset1:176
	v_fma_f16 v2, v2, v51, -v30
	v_mul_f16_sdwa v30, v3, v52 dst_sel:DWORD dst_unused:UNUSED_PAD src0_sel:WORD_1 src1_sel:DWORD
	v_lshrrev_b32_e32 v53, 16, v32
	v_fma_f16 v30, v3, v31, v30
	v_mul_f16_sdwa v31, v3, v31 dst_sel:DWORD dst_unused:UNUSED_PAD src0_sel:WORD_1 src1_sel:DWORD
	ds_read_b32 v54, v34 offset:7040
	v_fma_f16 v3, v3, v52, -v31
	v_mul_f16_sdwa v31, v4, v53 dst_sel:DWORD dst_unused:UNUSED_PAD src0_sel:WORD_1 src1_sel:DWORD
	s_waitcnt lgkmcnt(2)
	v_lshrrev_b32_e32 v55, 16, v46
	v_fma_f16 v31, v4, v32, v31
	v_mul_f16_sdwa v32, v4, v32 dst_sel:DWORD dst_unused:UNUSED_PAD src0_sel:WORD_1 src1_sel:DWORD
	v_lshrrev_b32_e32 v56, 16, v47
	v_fma_f16 v4, v4, v53, -v32
	v_mul_f16_sdwa v32, v5, v55 dst_sel:DWORD dst_unused:UNUSED_PAD src0_sel:WORD_1 src1_sel:DWORD
	v_mul_f16_sdwa v33, v5, v46 dst_sel:DWORD dst_unused:UNUSED_PAD src0_sel:WORD_1 src1_sel:DWORD
	s_waitcnt lgkmcnt(1)
	v_lshrrev_b32_e32 v57, 16, v48
	v_fma_f16 v32, v5, v46, v32
	v_fma_f16 v5, v5, v55, -v33
	v_mul_f16_sdwa v33, v6, v56 dst_sel:DWORD dst_unused:UNUSED_PAD src0_sel:WORD_1 src1_sel:DWORD
	v_mul_f16_sdwa v46, v6, v47 dst_sel:DWORD dst_unused:UNUSED_PAD src0_sel:WORD_1 src1_sel:DWORD
	v_lshrrev_b32_e32 v58, 16, v49
	v_fma_f16 v33, v6, v47, v33
	v_fma_f16 v6, v6, v56, -v46
	v_mul_f16_sdwa v46, v7, v57 dst_sel:DWORD dst_unused:UNUSED_PAD src0_sel:WORD_1 src1_sel:DWORD
	v_mul_f16_sdwa v47, v7, v48 dst_sel:DWORD dst_unused:UNUSED_PAD src0_sel:WORD_1 src1_sel:DWORD
	s_waitcnt lgkmcnt(0)
	v_lshrrev_b32_e32 v59, 16, v54
	v_fma_f16 v46, v7, v48, v46
	v_fma_f16 v7, v7, v57, -v47
	v_mul_f16_sdwa v47, v22, v58 dst_sel:DWORD dst_unused:UNUSED_PAD src0_sel:WORD_1 src1_sel:DWORD
	v_mul_f16_sdwa v48, v22, v49 dst_sel:DWORD dst_unused:UNUSED_PAD src0_sel:WORD_1 src1_sel:DWORD
	v_fma_f16 v47, v22, v49, v47
	v_fma_f16 v22, v22, v58, -v48
	v_mul_f16_sdwa v48, v23, v59 dst_sel:DWORD dst_unused:UNUSED_PAD src0_sel:WORD_1 src1_sel:DWORD
	v_mul_f16_sdwa v49, v23, v54 dst_sel:DWORD dst_unused:UNUSED_PAD src0_sel:WORD_1 src1_sel:DWORD
	v_fma_f16 v48, v23, v54, v48
	v_fma_f16 v23, v23, v59, -v49
	v_add_f16_e32 v49, v27, v60
	v_add_f16_sdwa v50, v27, v0 dst_sel:DWORD dst_unused:UNUSED_PAD src0_sel:WORD_1 src1_sel:DWORD
	v_add_f16_e32 v49, v49, v28
	v_add_f16_e32 v50, v50, v1
	;; [unrolled: 1-line block ×17, first 2 shown]
	v_sub_f16_e32 v0, v0, v23
	v_add_f16_e32 v49, v49, v48
	v_add_f16_e32 v50, v50, v23
	;; [unrolled: 1-line block ×3, first 2 shown]
	v_sub_f16_e32 v48, v60, v48
	s_mov_b32 s7, 0xb853
	v_mul_f16_e32 v23, 0xb853, v0
	v_mul_f16_e32 v54, 0x3abb, v52
	s_movk_i32 s15, 0x3853
	s_mov_b32 s3, 0xbb47
	v_mul_f16_e32 v56, 0xbb47, v0
	s_movk_i32 s4, 0x36a6
	v_mul_f16_e32 v58, 0x36a6, v52
	s_movk_i32 s5, 0x3b47
	s_mov_b32 s2, 0xbbeb
	v_mul_f16_e32 v60, 0xbbeb, v0
	s_mov_b32 s6, 0xb08e
	v_mul_f16_e32 v62, 0xb08e, v52
	s_movk_i32 s16, 0x3beb
	s_mov_b32 s17, 0xba0c
	v_mul_f16_e32 v65, 0xba0c, v0
	v_mul_f16_e32 v67, 0xb93d, v52
	s_movk_i32 s19, 0x3a0c
	s_mov_b32 s20, 0xb482
	v_mul_f16_e32 v0, 0xb482, v0
	s_mov_b32 s21, 0xbbad
	v_mul_f16_e32 v52, 0xbbad, v52
	s_movk_i32 s22, 0x3482
	v_fma_f16 v53, v51, s14, v23
	v_fma_f16 v55, v48, s15, v54
	v_fma_f16 v23, v51, s14, -v23
	v_fma_f16 v54, v48, s7, v54
	v_fma_f16 v57, v51, s4, v56
	v_fma_f16 v59, v48, s5, v58
	v_fma_f16 v56, v51, s4, -v56
	v_fma_f16 v58, v48, s3, v58
	;; [unrolled: 4-line block ×5, first 2 shown]
	v_add_f16_e32 v51, v1, v22
	v_sub_f16_e32 v1, v1, v22
	v_add_f16_e32 v53, v27, v53
	v_add_f16_sdwa v55, v27, v55 dst_sel:DWORD dst_unused:UNUSED_PAD src0_sel:WORD_1 src1_sel:DWORD
	v_add_f16_e32 v23, v27, v23
	v_add_f16_sdwa v54, v27, v54 dst_sel:DWORD dst_unused:UNUSED_PAD src0_sel:WORD_1 src1_sel:DWORD
	;; [unrolled: 2-line block ×10, first 2 shown]
	v_add_f16_e32 v48, v28, v47
	v_mul_f16_e32 v22, 0xbb47, v1
	v_sub_f16_e32 v28, v28, v47
	v_fma_f16 v47, v48, s4, v22
	v_mul_f16_e32 v52, 0x36a6, v51
	v_fma_f16 v22, v48, s4, -v22
	v_add_f16_e32 v47, v47, v53
	v_fma_f16 v53, v28, s5, v52
	v_add_f16_e32 v22, v22, v23
	v_fma_f16 v23, v28, s3, v52
	v_mul_f16_e32 v52, 0xba0c, v1
	v_add_f16_e32 v53, v53, v55
	v_add_f16_e32 v23, v23, v54
	v_fma_f16 v54, v48, s18, v52
	v_mul_f16_e32 v55, 0xb93d, v51
	v_fma_f16 v52, v48, s18, -v52
	v_add_f16_e32 v54, v54, v57
	v_fma_f16 v57, v28, s19, v55
	v_add_f16_e32 v52, v52, v56
	v_fma_f16 v55, v28, s17, v55
	v_mul_f16_e32 v56, 0x3482, v1
	v_add_f16_e32 v57, v57, v59
	v_add_f16_e32 v55, v55, v58
	;; [unrolled: 10-line block ×3, first 2 shown]
	v_fma_f16 v62, v48, s6, v60
	v_mul_f16_e32 v63, 0xb08e, v51
	v_fma_f16 v60, v48, s6, -v60
	v_mul_f16_e32 v1, 0x3853, v1
	v_add_f16_e32 v62, v62, v66
	v_fma_f16 v66, v28, s2, v63
	v_add_f16_e32 v60, v60, v65
	v_fma_f16 v63, v28, s16, v63
	v_fma_f16 v65, v48, s14, v1
	v_mul_f16_e32 v51, 0x3abb, v51
	v_fma_f16 v1, v48, s14, -v1
	v_add_f16_e32 v63, v63, v67
	v_fma_f16 v67, v28, s7, v51
	v_add_f16_e32 v0, v1, v0
	v_fma_f16 v1, v28, s15, v51
	v_add_f16_e32 v28, v2, v7
	v_sub_f16_e32 v2, v2, v7
	v_add_f16_e32 v1, v1, v27
	v_add_f16_e32 v27, v29, v46
	v_mul_f16_e32 v7, 0xbbeb, v2
	v_sub_f16_e32 v29, v29, v46
	v_fma_f16 v46, v27, s6, v7
	v_add_f16_e32 v46, v46, v47
	v_mul_f16_e32 v47, 0xb08e, v28
	v_fma_f16 v7, v27, s6, -v7
	v_add_f16_e32 v7, v7, v22
	v_fma_f16 v22, v29, s2, v47
	v_add_f16_e32 v22, v22, v23
	v_mul_f16_e32 v23, 0x3482, v2
	v_fma_f16 v48, v29, s16, v47
	v_fma_f16 v47, v27, s21, v23
	v_fma_f16 v23, v27, s21, -v23
	v_mul_f16_e32 v51, 0xbbad, v28
	v_add_f16_e32 v23, v23, v52
	v_mul_f16_e32 v52, 0x3b47, v2
	v_add_f16_e32 v48, v48, v53
	v_add_f16_e32 v47, v47, v54
	v_fma_f16 v53, v29, s20, v51
	v_fma_f16 v51, v29, s22, v51
	;; [unrolled: 1-line block ×3, first 2 shown]
	v_fma_f16 v52, v27, s4, -v52
	v_add_f16_e32 v51, v51, v55
	v_mul_f16_e32 v55, 0x36a6, v28
	v_add_f16_e32 v52, v52, v56
	v_mul_f16_e32 v56, 0xb853, v2
	v_add_f16_e32 v53, v53, v57
	v_add_f16_e32 v54, v54, v58
	v_fma_f16 v57, v29, s3, v55
	v_fma_f16 v55, v29, s5, v55
	;; [unrolled: 1-line block ×3, first 2 shown]
	v_fma_f16 v56, v27, s14, -v56
	v_mul_f16_e32 v2, 0xba0c, v2
	v_add_f16_e32 v55, v55, v59
	v_mul_f16_e32 v59, 0x3abb, v28
	v_add_f16_e32 v56, v56, v60
	v_fma_f16 v60, v27, s18, v2
	v_mul_f16_e32 v28, 0xb93d, v28
	v_fma_f16 v2, v27, s18, -v2
	v_add_f16_e32 v0, v2, v0
	v_fma_f16 v2, v29, s17, v28
	v_add_f16_e32 v27, v3, v6
	v_sub_f16_e32 v3, v3, v6
	v_add_f16_e32 v1, v2, v1
	v_add_f16_e32 v2, v30, v33
	v_mul_f16_e32 v6, 0xba0c, v3
	v_add_f16_e32 v57, v57, v61
	v_add_f16_e32 v58, v58, v62
	v_fma_f16 v61, v29, s15, v59
	v_fma_f16 v59, v29, s7, v59
	;; [unrolled: 1-line block ×3, first 2 shown]
	v_sub_f16_e32 v28, v30, v33
	v_fma_f16 v29, v2, s18, v6
	v_mul_f16_e32 v30, 0xb93d, v27
	v_fma_f16 v6, v2, s18, -v6
	v_add_f16_e32 v6, v6, v7
	v_fma_f16 v7, v28, s17, v30
	v_add_f16_e32 v7, v7, v22
	v_mul_f16_e32 v22, 0x3beb, v3
	v_add_f16_e32 v29, v29, v46
	v_fma_f16 v33, v28, s19, v30
	v_fma_f16 v30, v2, s6, v22
	v_mul_f16_e32 v46, 0xb08e, v27
	v_fma_f16 v22, v2, s6, -v22
	v_add_f16_e32 v30, v30, v47
	v_fma_f16 v47, v28, s2, v46
	v_add_f16_e32 v22, v22, v23
	v_fma_f16 v23, v28, s16, v46
	v_mul_f16_e32 v46, 0xb853, v3
	v_add_f16_e32 v33, v33, v48
	v_fma_f16 v48, v2, s14, v46
	v_fma_f16 v46, v2, s14, -v46
	v_add_f16_e32 v23, v23, v51
	v_mul_f16_e32 v51, 0x3abb, v27
	v_add_f16_e32 v46, v46, v52
	v_mul_f16_e32 v52, 0xb482, v3
	v_add_f16_e32 v47, v47, v53
	v_add_f16_e32 v48, v48, v54
	v_fma_f16 v53, v28, s15, v51
	v_fma_f16 v51, v28, s7, v51
	;; [unrolled: 1-line block ×3, first 2 shown]
	v_fma_f16 v52, v2, s21, -v52
	v_mul_f16_e32 v3, 0x3b47, v3
	v_add_f16_e32 v51, v51, v55
	v_mul_f16_e32 v55, 0xbbad, v27
	v_add_f16_e32 v52, v52, v56
	v_fma_f16 v56, v2, s4, v3
	v_mul_f16_e32 v27, 0x36a6, v27
	v_fma_f16 v2, v2, s4, -v3
	v_add_f16_e32 v0, v2, v0
	v_fma_f16 v2, v28, s5, v27
	v_add_f16_e32 v3, v4, v5
	v_sub_f16_e32 v4, v4, v5
	v_add_f16_e32 v1, v2, v1
	v_add_f16_e32 v2, v31, v32
	v_mul_f16_e32 v5, 0xb482, v4
	v_add_f16_e32 v53, v53, v57
	v_add_f16_e32 v54, v54, v58
	v_fma_f16 v57, v28, s22, v55
	v_fma_f16 v55, v28, s20, v55
	;; [unrolled: 1-line block ×4, first 2 shown]
	v_sub_f16_e32 v27, v31, v32
	v_add_f16_e32 v28, v28, v29
	v_mul_f16_e32 v29, 0xbbad, v3
	v_fma_f16 v5, v2, s21, -v5
	v_add_f16_e32 v5, v5, v6
	v_fma_f16 v6, v27, s20, v29
	v_add_f16_e32 v6, v6, v7
	v_mul_f16_e32 v7, 0x3853, v4
	v_fma_f16 v31, v27, s22, v29
	v_fma_f16 v29, v2, s14, v7
	v_add_f16_e32 v29, v29, v30
	v_mul_f16_e32 v30, 0x3abb, v3
	v_fma_f16 v7, v2, s14, -v7
	v_add_f16_e32 v7, v7, v22
	v_fma_f16 v22, v27, s15, v30
	v_add_f16_e32 v22, v22, v23
	v_mul_f16_e32 v23, 0xba0c, v4
	v_fma_f16 v32, v27, s7, v30
	v_fma_f16 v30, v2, s18, v23
	v_fma_f16 v23, v2, s18, -v23
	v_add_f16_e32 v31, v31, v33
	v_mul_f16_e32 v33, 0xb93d, v3
	v_add_f16_e32 v23, v23, v46
	v_mul_f16_e32 v46, 0x3b47, v4
	v_add_f16_e32 v32, v32, v47
	v_add_f16_e32 v30, v30, v48
	v_fma_f16 v47, v27, s19, v33
	v_fma_f16 v33, v27, s17, v33
	;; [unrolled: 1-line block ×3, first 2 shown]
	v_fma_f16 v46, v2, s4, -v46
	v_mul_f16_e32 v4, 0xbbeb, v4
	v_add_f16_e32 v59, v59, v63
	v_add_f16_e32 v33, v33, v51
	v_mul_f16_e32 v51, 0x36a6, v3
	v_add_f16_e32 v46, v46, v52
	v_fma_f16 v52, v2, s6, v4
	v_mul_f16_e32 v3, 0xb08e, v3
	v_fma_f16 v2, v2, s6, -v4
	v_add_f16_e32 v66, v66, v68
	v_add_f16_e32 v65, v65, v69
	;; [unrolled: 1-line block ×5, first 2 shown]
	v_fma_f16 v53, v27, s3, v51
	v_fma_f16 v51, v27, s5, v51
	v_add_f16_e32 v0, v2, v0
	v_fma_f16 v2, v27, s2, v3
	v_add_f16_e32 v61, v61, v66
	v_add_f16_e32 v60, v60, v65
	;; [unrolled: 1-line block ×9, first 2 shown]
	v_fma_f16 v54, v27, s16, v3
	v_pack_b32_f16 v2, v49, v50
	v_pack_b32_f16 v3, v28, v31
	;; [unrolled: 1-line block ×4, first 2 shown]
	v_add_f16_e32 v53, v53, v57
	v_add_f16_e32 v52, v52, v56
	;; [unrolled: 1-line block ×3, first 2 shown]
	s_barrier
	ds_write2_b32 v64, v2, v3 offset1:16
	v_pack_b32_f16 v2, v29, v32
	v_pack_b32_f16 v3, v30, v47
	ds_write2_b32 v64, v0, v1 offset0:96 offset1:112
	v_pack_b32_f16 v0, v23, v33
	v_pack_b32_f16 v1, v7, v22
	ds_write2_b32 v64, v2, v3 offset0:32 offset1:48
	;; [unrolled: 3-line block ×3, first 2 shown]
	v_pack_b32_f16 v0, v5, v6
	ds_write2_b32 v64, v2, v3 offset0:64 offset1:80
	ds_write_b32 v64, v0 offset:640
	s_waitcnt lgkmcnt(0)
	s_barrier
	ds_read2_b32 v[0:1], v34 offset1:176
	ds_read2_b32 v[2:3], v16 offset0:32 offset1:208
	ds_read2_b32 v[4:5], v17 offset0:64 offset1:240
	;; [unrolled: 1-line block ×3, first 2 shown]
	ds_read2_b32 v[22:23], v26 offset1:176
	s_waitcnt lgkmcnt(4)
	v_lshrrev_b32_e32 v27, 16, v1
	v_mul_f16_sdwa v50, v8, v27 dst_sel:DWORD dst_unused:UNUSED_PAD src0_sel:WORD_1 src1_sel:DWORD
	s_waitcnt lgkmcnt(3)
	v_lshrrev_b32_e32 v28, 16, v2
	v_fma_f16 v50, v8, v1, v50
	v_mul_f16_sdwa v1, v8, v1 dst_sel:DWORD dst_unused:UNUSED_PAD src0_sel:WORD_1 src1_sel:DWORD
	v_fma_f16 v1, v8, v27, -v1
	v_mul_f16_sdwa v8, v9, v28 dst_sel:DWORD dst_unused:UNUSED_PAD src0_sel:WORD_1 src1_sel:DWORD
	v_lshrrev_b32_e32 v29, 16, v3
	v_fma_f16 v8, v9, v2, v8
	v_mul_f16_sdwa v2, v9, v2 dst_sel:DWORD dst_unused:UNUSED_PAD src0_sel:WORD_1 src1_sel:DWORD
	v_fma_f16 v2, v9, v28, -v2
	v_mul_f16_sdwa v9, v10, v29 dst_sel:DWORD dst_unused:UNUSED_PAD src0_sel:WORD_1 src1_sel:DWORD
	s_waitcnt lgkmcnt(2)
	v_lshrrev_b32_e32 v30, 16, v4
	v_fma_f16 v9, v10, v3, v9
	v_mul_f16_sdwa v3, v10, v3 dst_sel:DWORD dst_unused:UNUSED_PAD src0_sel:WORD_1 src1_sel:DWORD
	v_fma_f16 v3, v10, v29, -v3
	v_mul_f16_sdwa v10, v11, v30 dst_sel:DWORD dst_unused:UNUSED_PAD src0_sel:WORD_1 src1_sel:DWORD
	v_lshrrev_b32_e32 v31, 16, v5
	v_fma_f16 v10, v11, v4, v10
	v_mul_f16_sdwa v4, v11, v4 dst_sel:DWORD dst_unused:UNUSED_PAD src0_sel:WORD_1 src1_sel:DWORD
	v_fma_f16 v4, v11, v30, -v4
	v_mul_f16_sdwa v11, v12, v31 dst_sel:DWORD dst_unused:UNUSED_PAD src0_sel:WORD_1 src1_sel:DWORD
	s_waitcnt lgkmcnt(1)
	v_lshrrev_b32_e32 v33, 16, v6
	v_fma_f16 v11, v12, v5, v11
	v_mul_f16_sdwa v5, v12, v5 dst_sel:DWORD dst_unused:UNUSED_PAD src0_sel:WORD_1 src1_sel:DWORD
	v_fma_f16 v5, v12, v31, -v5
	v_mul_f16_sdwa v12, v13, v33 dst_sel:DWORD dst_unused:UNUSED_PAD src0_sel:WORD_1 src1_sel:DWORD
	v_lshrrev_b32_e32 v46, 16, v7
	v_fma_f16 v12, v13, v6, v12
	v_mul_f16_sdwa v6, v13, v6 dst_sel:DWORD dst_unused:UNUSED_PAD src0_sel:WORD_1 src1_sel:DWORD
	ds_read_b32 v32, v34 offset:7040
	v_fma_f16 v6, v13, v33, -v6
	v_mul_f16_sdwa v13, v14, v46 dst_sel:DWORD dst_unused:UNUSED_PAD src0_sel:WORD_1 src1_sel:DWORD
	s_waitcnt lgkmcnt(1)
	v_lshrrev_b32_e32 v47, 16, v22
	v_fma_f16 v13, v14, v7, v13
	v_mul_f16_sdwa v7, v14, v7 dst_sel:DWORD dst_unused:UNUSED_PAD src0_sel:WORD_1 src1_sel:DWORD
	v_fma_f16 v7, v14, v46, -v7
	v_mul_f16_sdwa v14, v15, v47 dst_sel:DWORD dst_unused:UNUSED_PAD src0_sel:WORD_1 src1_sel:DWORD
	v_lshrrev_b32_e32 v48, 16, v23
	v_fma_f16 v14, v15, v22, v14
	v_mul_f16_sdwa v22, v15, v22 dst_sel:DWORD dst_unused:UNUSED_PAD src0_sel:WORD_1 src1_sel:DWORD
	v_fma_f16 v15, v15, v47, -v22
	v_mul_f16_sdwa v22, v24, v48 dst_sel:DWORD dst_unused:UNUSED_PAD src0_sel:WORD_1 src1_sel:DWORD
	s_waitcnt lgkmcnt(0)
	v_lshrrev_b32_e32 v49, 16, v32
	v_fma_f16 v22, v24, v23, v22
	v_mul_f16_sdwa v23, v24, v23 dst_sel:DWORD dst_unused:UNUSED_PAD src0_sel:WORD_1 src1_sel:DWORD
	v_fma_f16 v23, v24, v48, -v23
	v_mul_f16_sdwa v24, v25, v49 dst_sel:DWORD dst_unused:UNUSED_PAD src0_sel:WORD_1 src1_sel:DWORD
	v_mul_f16_sdwa v27, v25, v32 dst_sel:DWORD dst_unused:UNUSED_PAD src0_sel:WORD_1 src1_sel:DWORD
	v_fma_f16 v24, v25, v32, v24
	v_fma_f16 v25, v25, v49, -v27
	v_add_f16_e32 v27, v0, v50
	v_add_f16_sdwa v28, v0, v1 dst_sel:DWORD dst_unused:UNUSED_PAD src0_sel:WORD_1 src1_sel:DWORD
	v_add_f16_e32 v27, v27, v8
	v_add_f16_e32 v28, v28, v2
	;; [unrolled: 1-line block ×17, first 2 shown]
	v_sub_f16_e32 v1, v1, v25
	v_add_f16_e32 v27, v27, v24
	v_add_f16_e32 v28, v28, v25
	;; [unrolled: 1-line block ×3, first 2 shown]
	v_sub_f16_e32 v24, v50, v24
	v_mul_f16_e32 v25, 0xb853, v1
	v_mul_f16_e32 v32, 0x3abb, v30
	;; [unrolled: 1-line block ×10, first 2 shown]
	v_fma_f16 v31, v29, s14, v25
	v_fma_f16 v33, v24, s15, v32
	v_fma_f16 v25, v29, s14, -v25
	v_fma_f16 v32, v24, s7, v32
	v_fma_f16 v47, v29, s4, v46
	v_fma_f16 v49, v24, s5, v48
	v_fma_f16 v46, v29, s4, -v46
	v_fma_f16 v48, v24, s3, v48
	;; [unrolled: 4-line block ×5, first 2 shown]
	v_add_f16_e32 v29, v2, v23
	v_sub_f16_e32 v2, v2, v23
	v_add_f16_e32 v31, v0, v31
	v_add_f16_sdwa v33, v0, v33 dst_sel:DWORD dst_unused:UNUSED_PAD src0_sel:WORD_1 src1_sel:DWORD
	v_add_f16_e32 v25, v0, v25
	v_add_f16_sdwa v32, v0, v32 dst_sel:DWORD dst_unused:UNUSED_PAD src0_sel:WORD_1 src1_sel:DWORD
	;; [unrolled: 2-line block ×10, first 2 shown]
	v_add_f16_e32 v24, v8, v22
	v_sub_f16_e32 v8, v8, v22
	v_mul_f16_e32 v22, 0xbb47, v2
	v_fma_f16 v23, v24, s4, v22
	v_mul_f16_e32 v30, 0x36a6, v29
	v_fma_f16 v22, v24, s4, -v22
	v_add_f16_e32 v23, v23, v31
	v_fma_f16 v31, v8, s5, v30
	v_add_f16_e32 v22, v22, v25
	v_fma_f16 v25, v8, s3, v30
	v_mul_f16_e32 v30, 0xba0c, v2
	v_add_f16_e32 v31, v31, v33
	v_add_f16_e32 v25, v25, v32
	v_fma_f16 v32, v24, s18, v30
	v_mul_f16_e32 v33, 0xb93d, v29
	v_fma_f16 v30, v24, s18, -v30
	v_add_f16_e32 v32, v32, v47
	v_fma_f16 v47, v8, s19, v33
	v_add_f16_e32 v30, v30, v46
	v_fma_f16 v33, v8, s17, v33
	v_mul_f16_e32 v46, 0x3482, v2
	v_add_f16_e32 v47, v47, v49
	v_add_f16_e32 v33, v33, v48
	;; [unrolled: 10-line block ×3, first 2 shown]
	v_fma_f16 v52, v24, s6, v50
	v_mul_f16_e32 v53, 0xb08e, v29
	v_fma_f16 v50, v24, s6, -v50
	v_mul_f16_e32 v2, 0x3853, v2
	v_add_f16_e32 v52, v52, v55
	v_fma_f16 v55, v8, s2, v53
	v_add_f16_e32 v50, v50, v54
	v_fma_f16 v53, v8, s16, v53
	v_fma_f16 v54, v24, s14, v2
	v_mul_f16_e32 v29, 0x3abb, v29
	v_fma_f16 v2, v24, s14, -v2
	v_add_f16_e32 v53, v53, v56
	v_fma_f16 v56, v8, s7, v29
	v_add_f16_e32 v1, v2, v1
	v_fma_f16 v2, v8, s15, v29
	v_add_f16_e32 v8, v3, v15
	v_sub_f16_e32 v3, v3, v15
	v_add_f16_e32 v0, v2, v0
	v_add_f16_e32 v2, v9, v14
	v_sub_f16_e32 v9, v9, v14
	v_mul_f16_e32 v14, 0xbbeb, v3
	v_fma_f16 v15, v2, s6, v14
	v_add_f16_e32 v15, v15, v23
	v_mul_f16_e32 v23, 0xb08e, v8
	v_fma_f16 v14, v2, s6, -v14
	v_fma_f16 v24, v9, s16, v23
	v_add_f16_e32 v14, v14, v22
	v_fma_f16 v22, v9, s2, v23
	v_mul_f16_e32 v23, 0x3482, v3
	v_add_f16_e32 v22, v22, v25
	v_fma_f16 v25, v2, s21, v23
	v_fma_f16 v23, v2, s21, -v23
	v_mul_f16_e32 v29, 0xbbad, v8
	v_add_f16_e32 v23, v23, v30
	v_mul_f16_e32 v30, 0x3b47, v3
	v_add_f16_e32 v24, v24, v31
	v_add_f16_e32 v25, v25, v32
	v_fma_f16 v31, v9, s20, v29
	v_fma_f16 v29, v9, s22, v29
	;; [unrolled: 1-line block ×3, first 2 shown]
	v_fma_f16 v30, v2, s4, -v30
	v_add_f16_e32 v29, v29, v33
	v_mul_f16_e32 v33, 0x36a6, v8
	v_add_f16_e32 v30, v30, v46
	v_mul_f16_e32 v46, 0xb853, v3
	v_add_f16_e32 v31, v31, v47
	v_add_f16_e32 v32, v32, v48
	v_fma_f16 v47, v9, s3, v33
	v_fma_f16 v33, v9, s5, v33
	;; [unrolled: 1-line block ×3, first 2 shown]
	v_fma_f16 v46, v2, s14, -v46
	v_mul_f16_e32 v3, 0xba0c, v3
	v_add_f16_e32 v33, v33, v49
	v_mul_f16_e32 v49, 0x3abb, v8
	v_add_f16_e32 v46, v46, v50
	v_fma_f16 v50, v2, s18, v3
	v_mul_f16_e32 v8, 0xb93d, v8
	v_fma_f16 v2, v2, s18, -v3
	v_add_f16_e32 v1, v2, v1
	v_fma_f16 v2, v9, s17, v8
	v_add_f16_e32 v3, v4, v7
	v_sub_f16_e32 v4, v4, v7
	v_add_f16_e32 v0, v2, v0
	v_add_f16_e32 v2, v10, v13
	v_mul_f16_e32 v7, 0xba0c, v4
	v_add_f16_e32 v47, v47, v51
	v_add_f16_e32 v48, v48, v52
	v_fma_f16 v51, v9, s15, v49
	v_fma_f16 v49, v9, s7, v49
	;; [unrolled: 1-line block ×4, first 2 shown]
	v_fma_f16 v7, v2, s18, -v7
	v_sub_f16_e32 v8, v10, v13
	v_mul_f16_e32 v10, 0xb93d, v3
	v_add_f16_e32 v7, v7, v14
	v_mul_f16_e32 v14, 0x3beb, v4
	v_add_f16_e32 v9, v9, v15
	v_fma_f16 v13, v8, s19, v10
	v_fma_f16 v10, v8, s17, v10
	;; [unrolled: 1-line block ×3, first 2 shown]
	v_fma_f16 v14, v2, s6, -v14
	v_add_f16_e32 v10, v10, v22
	v_mul_f16_e32 v22, 0xb08e, v3
	v_add_f16_e32 v14, v14, v23
	v_mul_f16_e32 v23, 0xb853, v4
	v_add_f16_e32 v13, v13, v24
	v_add_f16_e32 v15, v15, v25
	v_fma_f16 v24, v8, s2, v22
	v_fma_f16 v22, v8, s16, v22
	;; [unrolled: 1-line block ×3, first 2 shown]
	v_fma_f16 v23, v2, s14, -v23
	v_add_f16_e32 v22, v22, v29
	v_mul_f16_e32 v29, 0x3abb, v3
	v_add_f16_e32 v23, v23, v30
	v_mul_f16_e32 v30, 0xb482, v4
	v_add_f16_e32 v24, v24, v31
	v_add_f16_e32 v25, v25, v32
	v_fma_f16 v31, v8, s15, v29
	v_fma_f16 v29, v8, s7, v29
	;; [unrolled: 1-line block ×3, first 2 shown]
	v_fma_f16 v30, v2, s21, -v30
	v_mul_f16_e32 v4, 0x3b47, v4
	v_add_f16_e32 v29, v29, v33
	v_mul_f16_e32 v33, 0xbbad, v3
	v_add_f16_e32 v30, v30, v46
	v_fma_f16 v46, v2, s4, v4
	v_mul_f16_e32 v3, 0x36a6, v3
	v_fma_f16 v2, v2, s4, -v4
	v_add_f16_e32 v32, v32, v48
	v_fma_f16 v48, v8, s3, v3
	v_add_f16_e32 v1, v2, v1
	v_fma_f16 v2, v8, s5, v3
	v_add_f16_e32 v3, v5, v6
	v_sub_f16_e32 v5, v5, v6
	v_add_f16_e32 v0, v2, v0
	v_add_f16_e32 v2, v11, v12
	v_mul_f16_e32 v6, 0xb482, v5
	v_add_f16_e32 v31, v31, v47
	v_fma_f16 v47, v8, s22, v33
	v_fma_f16 v33, v8, s20, v33
	;; [unrolled: 1-line block ×3, first 2 shown]
	v_sub_f16_e32 v4, v11, v12
	v_add_f16_e32 v8, v8, v9
	v_mul_f16_e32 v9, 0xbbad, v3
	v_fma_f16 v6, v2, s21, -v6
	v_fma_f16 v11, v4, s22, v9
	v_add_f16_e32 v6, v6, v7
	v_fma_f16 v7, v4, s20, v9
	v_mul_f16_e32 v9, 0x3853, v5
	v_add_f16_e32 v7, v7, v10
	v_fma_f16 v10, v2, s14, v9
	v_fma_f16 v9, v2, s14, -v9
	v_mul_f16_e32 v12, 0x3abb, v3
	v_add_f16_e32 v9, v9, v14
	v_mul_f16_e32 v14, 0xba0c, v5
	v_add_f16_e32 v11, v11, v13
	v_add_f16_e32 v10, v10, v15
	v_fma_f16 v13, v4, s7, v12
	v_fma_f16 v12, v4, s15, v12
	v_fma_f16 v15, v2, s18, v14
	v_fma_f16 v14, v2, s18, -v14
	v_add_f16_e32 v12, v12, v22
	v_mul_f16_e32 v22, 0xb93d, v3
	v_add_f16_e32 v14, v14, v23
	v_mul_f16_e32 v23, 0x3b47, v5
	v_add_f16_e32 v13, v13, v24
	v_add_f16_e32 v15, v15, v25
	v_fma_f16 v24, v4, s19, v22
	v_fma_f16 v22, v4, s17, v22
	;; [unrolled: 1-line block ×3, first 2 shown]
	v_fma_f16 v23, v2, s4, -v23
	v_mul_f16_e32 v5, 0xbbeb, v5
	v_add_f16_e32 v55, v55, v57
	v_add_f16_e32 v54, v54, v58
	;; [unrolled: 1-line block ×4, first 2 shown]
	v_mul_f16_e32 v29, 0x36a6, v3
	v_add_f16_e32 v23, v23, v30
	v_fma_f16 v30, v2, s6, v5
	v_mul_f16_e32 v3, 0xb08e, v3
	v_fma_f16 v2, v2, s6, -v5
	v_add_f16_e32 v51, v51, v55
	v_add_f16_e32 v49, v49, v53
	;; [unrolled: 1-line block ×5, first 2 shown]
	v_fma_f16 v2, v4, s2, v3
	v_add_f16_e32 v47, v47, v51
	v_add_f16_e32 v33, v33, v49
	v_add_f16_e32 v46, v46, v50
	v_add_f16_e32 v48, v48, v52
	v_add_f16_e32 v24, v24, v31
	v_add_f16_e32 v25, v25, v32
	v_fma_f16 v31, v4, s3, v29
	v_fma_f16 v29, v4, s5, v29
	;; [unrolled: 1-line block ×3, first 2 shown]
	v_add_f16_e32 v0, v2, v0
	v_pack_b32_f16 v2, v27, v28
	v_pack_b32_f16 v3, v8, v11
	v_add_f16_e32 v31, v31, v47
	v_add_f16_e32 v29, v29, v33
	v_add_f16_e32 v30, v30, v46
	v_add_f16_e32 v32, v32, v48
	ds_write2_b32 v34, v2, v3 offset1:176
	v_pack_b32_f16 v2, v10, v13
	v_pack_b32_f16 v3, v15, v24
	ds_write2_b32 v16, v2, v3 offset0:32 offset1:208
	v_pack_b32_f16 v2, v25, v31
	v_pack_b32_f16 v3, v30, v32
	;; [unrolled: 1-line block ×4, first 2 shown]
	ds_write2_b32 v17, v2, v3 offset0:64 offset1:240
	ds_write2_b32 v18, v0, v1 offset0:32 offset1:208
	v_pack_b32_f16 v0, v14, v22
	v_pack_b32_f16 v1, v9, v12
	ds_write2_b32 v26, v0, v1 offset1:176
	v_pack_b32_f16 v0, v6, v7
	ds_write_b32 v34, v0 offset:7040
	s_waitcnt lgkmcnt(0)
	s_barrier
	ds_read2_b32 v[2:3], v34 offset1:176
	s_mov_b32 s6, 0x6be69c90
	s_mov_b32 s7, 0x3f40ecf5
	s_movk_i32 s14, 0x1ff
	s_movk_i32 s15, 0xffe
	s_waitcnt lgkmcnt(0)
	v_lshrrev_b32_e32 v8, 16, v2
	v_mul_f16_sdwa v0, v45, v8 dst_sel:DWORD dst_unused:UNUSED_PAD src0_sel:WORD_1 src1_sel:DWORD
	v_fma_f16 v0, v45, v2, v0
	v_cvt_f32_f16_e32 v4, v0
	v_mad_u64_u32 v[0:1], s[2:3], s10, v21, 0
	s_movk_i32 s16, 0x40f
	v_cvt_f64_f32_e32 v[4:5], v4
	v_mad_u64_u32 v[6:7], s[2:3], s11, v21, v[1:2]
	v_mul_f16_sdwa v2, v45, v2 dst_sel:DWORD dst_unused:UNUSED_PAD src0_sel:WORD_1 src1_sel:DWORD
	v_mul_f64 v[4:5], v[4:5], s[6:7]
	v_mov_b32_e32 v1, v6
	v_fma_f16 v2, v45, v8, -v2
	s_mov_b32 s17, 0x8000
	v_lshlrev_b64 v[0:1], 2, v[0:1]
	s_movk_i32 s18, 0x1000
	v_and_or_b32 v4, v5, s14, v4
	v_cmp_ne_u32_e32 vcc, 0, v4
	v_cndmask_b32_e64 v4, 0, 1, vcc
	v_lshrrev_b32_e32 v6, 8, v5
	v_bfe_u32 v7, v5, 20, 11
	v_and_or_b32 v4, v6, s15, v4
	v_sub_u32_e32 v9, 0x3f1, v7
	v_or_b32_e32 v6, 0x1000, v4
	v_med3_i32 v9, v9, 0, 13
	v_lshrrev_b32_e32 v10, v9, v6
	v_lshlrev_b32_e32 v9, v9, v10
	v_cmp_ne_u32_e32 vcc, v9, v6
	v_cndmask_b32_e64 v6, 0, 1, vcc
	v_add_u32_e32 v9, 0xfffffc10, v7
	v_or_b32_e32 v6, v10, v6
	v_lshl_or_b32 v7, v9, 12, v4
	v_cmp_gt_i32_e32 vcc, 1, v9
	v_cndmask_b32_e32 v6, v7, v6, vcc
	v_and_b32_e32 v7, 7, v6
	v_cmp_lt_i32_e32 vcc, 5, v7
	v_cmp_eq_u32_e64 s[2:3], 3, v7
	v_cvt_f32_f16_e32 v7, v2
	v_lshrrev_b32_e32 v6, 2, v6
	s_or_b64 vcc, s[2:3], vcc
	v_addc_co_u32_e32 v8, vcc, 0, v6, vcc
	v_cvt_f64_f32_e32 v[6:7], v7
	v_mov_b32_e32 v2, 0x7c00
	v_cmp_gt_i32_e32 vcc, 31, v9
	v_cndmask_b32_e32 v8, v2, v8, vcc
	v_mul_f64 v[6:7], v[6:7], s[6:7]
	v_cmp_ne_u32_e32 vcc, 0, v4
	v_cndmask_b32_e64 v4, 0, 1, vcc
	v_lshl_or_b32 v4, v4, 9, v2
	v_cmp_eq_u32_e32 vcc, s16, v9
	v_cndmask_b32_e32 v4, v8, v4, vcc
	v_lshrrev_b32_e32 v5, 16, v5
	v_and_or_b32 v10, v5, s17, v4
	v_and_or_b32 v4, v7, s14, v6
	v_cmp_ne_u32_e32 vcc, 0, v4
	v_cndmask_b32_e64 v4, 0, 1, vcc
	v_lshrrev_b32_e32 v5, 8, v7
	v_bfe_u32 v6, v7, 20, 11
	v_and_or_b32 v4, v5, s15, v4
	v_sub_u32_e32 v8, 0x3f1, v6
	v_or_b32_e32 v5, 0x1000, v4
	v_med3_i32 v8, v8, 0, 13
	v_lshrrev_b32_e32 v9, v8, v5
	v_lshlrev_b32_e32 v8, v8, v9
	v_cmp_ne_u32_e32 vcc, v8, v5
	v_cndmask_b32_e64 v5, 0, 1, vcc
	v_add_u32_e32 v6, 0xfffffc10, v6
	v_or_b32_e32 v5, v9, v5
	v_lshl_or_b32 v8, v6, 12, v4
	v_cmp_gt_i32_e32 vcc, 1, v6
	v_cndmask_b32_e32 v5, v8, v5, vcc
	v_and_b32_e32 v8, 7, v5
	v_cmp_lt_i32_e32 vcc, 5, v8
	v_cmp_eq_u32_e64 s[2:3], 3, v8
	v_lshrrev_b32_e32 v5, 2, v5
	s_or_b64 vcc, s[2:3], vcc
	v_addc_co_u32_e32 v5, vcc, 0, v5, vcc
	v_cmp_gt_i32_e32 vcc, 31, v6
	v_cndmask_b32_e32 v5, v2, v5, vcc
	v_cmp_ne_u32_e32 vcc, 0, v4
	v_cndmask_b32_e64 v4, 0, 1, vcc
	v_cmp_eq_u32_e32 vcc, s16, v6
	v_add_u32_e32 v6, 0xe00, v34
	v_lshl_or_b32 v4, v4, 9, v2
	ds_read2_b32 v[8:9], v6 offset0:72 offset1:248
	v_cndmask_b32_e32 v11, v5, v4, vcc
	v_mad_u64_u32 v[4:5], s[2:3], s8, v43, 0
	v_lshrrev_b32_e32 v7, 16, v7
	s_waitcnt lgkmcnt(0)
	v_lshrrev_b32_e32 v12, 16, v8
	v_mad_u64_u32 v[5:6], s[2:3], s9, v43, v[5:6]
	v_mul_f16_sdwa v6, v44, v12 dst_sel:DWORD dst_unused:UNUSED_PAD src0_sel:WORD_1 src1_sel:DWORD
	v_fma_f16 v6, v44, v8, v6
	v_cvt_f32_f16_e32 v6, v6
	v_and_or_b32 v11, v7, s17, v11
	v_and_b32_e32 v10, 0xffff, v10
	v_lshl_or_b32 v10, v11, 16, v10
	v_cvt_f64_f32_e32 v[6:7], v6
	v_mov_b32_e32 v11, s13
	v_add_co_u32_e32 v13, vcc, s12, v0
	v_mul_f64 v[6:7], v[6:7], s[6:7]
	v_addc_co_u32_e32 v11, vcc, v11, v1, vcc
	v_lshlrev_b64 v[0:1], 2, v[4:5]
	v_mul_f16_sdwa v8, v44, v8 dst_sel:DWORD dst_unused:UNUSED_PAD src0_sel:WORD_1 src1_sel:DWORD
	v_add_co_u32_e32 v4, vcc, v13, v0
	v_addc_co_u32_e32 v5, vcc, v11, v1, vcc
	v_and_or_b32 v0, v7, s14, v6
	v_cmp_ne_u32_e32 vcc, 0, v0
	v_cndmask_b32_e64 v0, 0, 1, vcc
	v_lshrrev_b32_e32 v1, 8, v7
	v_and_or_b32 v6, v1, s15, v0
	v_bfe_u32 v1, v7, 20, 11
	global_store_dword v[4:5], v10, off
	v_sub_u32_e32 v10, 0x3f1, v1
	v_or_b32_e32 v0, 0x1000, v6
	v_med3_i32 v10, v10, 0, 13
	v_lshrrev_b32_e32 v11, v10, v0
	v_lshlrev_b32_e32 v10, v10, v11
	v_cmp_ne_u32_e32 vcc, v10, v0
	v_fma_f16 v8, v44, v12, -v8
	v_cndmask_b32_e64 v0, 0, 1, vcc
	v_add_u32_e32 v10, 0xfffffc10, v1
	v_cvt_f32_f16_e32 v8, v8
	v_or_b32_e32 v0, v11, v0
	v_lshl_or_b32 v1, v10, 12, v6
	v_cmp_gt_i32_e32 vcc, 1, v10
	v_cndmask_b32_e32 v0, v1, v0, vcc
	v_and_b32_e32 v1, 7, v0
	v_cmp_lt_i32_e32 vcc, 5, v1
	v_cmp_eq_u32_e64 s[2:3], 3, v1
	v_lshrrev_b32_e32 v11, 2, v0
	v_cvt_f64_f32_e32 v[0:1], v8
	s_or_b64 vcc, s[2:3], vcc
	v_addc_co_u32_e32 v8, vcc, 0, v11, vcc
	v_mul_f64 v[0:1], v[0:1], s[6:7]
	v_cmp_gt_i32_e32 vcc, 31, v10
	v_cndmask_b32_e32 v8, v2, v8, vcc
	v_cmp_ne_u32_e32 vcc, 0, v6
	v_cndmask_b32_e64 v6, 0, 1, vcc
	v_lshl_or_b32 v6, v6, 9, v2
	v_cmp_eq_u32_e32 vcc, s16, v10
	v_cndmask_b32_e32 v6, v8, v6, vcc
	v_and_or_b32 v0, v1, s14, v0
	v_lshrrev_b32_e32 v7, 16, v7
	v_cmp_ne_u32_e32 vcc, 0, v0
	v_and_or_b32 v6, v7, s17, v6
	v_cndmask_b32_e64 v0, 0, 1, vcc
	v_lshrrev_b32_e32 v7, 8, v1
	v_bfe_u32 v8, v1, 20, 11
	v_and_or_b32 v0, v7, s15, v0
	v_sub_u32_e32 v10, 0x3f1, v8
	v_or_b32_e32 v7, 0x1000, v0
	v_med3_i32 v10, v10, 0, 13
	v_lshrrev_b32_e32 v11, v10, v7
	v_lshlrev_b32_e32 v10, v10, v11
	v_cmp_ne_u32_e32 vcc, v10, v7
	v_cndmask_b32_e64 v7, 0, 1, vcc
	v_add_u32_e32 v8, 0xfffffc10, v8
	v_or_b32_e32 v7, v11, v7
	v_lshl_or_b32 v10, v8, 12, v0
	v_cmp_gt_i32_e32 vcc, 1, v8
	v_cndmask_b32_e32 v7, v10, v7, vcc
	v_and_b32_e32 v10, 7, v7
	v_cmp_lt_i32_e32 vcc, 5, v10
	v_cmp_eq_u32_e64 s[2:3], 3, v10
	v_lshrrev_b32_e32 v7, 2, v7
	s_or_b64 vcc, s[2:3], vcc
	v_addc_co_u32_e32 v7, vcc, 0, v7, vcc
	v_cmp_gt_i32_e32 vcc, 31, v8
	v_cndmask_b32_e32 v7, v2, v7, vcc
	v_cmp_ne_u32_e32 vcc, 0, v0
	v_cndmask_b32_e64 v0, 0, 1, vcc
	v_lshl_or_b32 v0, v0, 9, v2
	v_cmp_eq_u32_e32 vcc, s16, v8
	v_cndmask_b32_e32 v0, v7, v0, vcc
	v_lshrrev_b32_e32 v1, 16, v1
	v_lshrrev_b32_e32 v8, 16, v3
	v_and_or_b32 v7, v1, s17, v0
	v_mul_f16_sdwa v0, v42, v8 dst_sel:DWORD dst_unused:UNUSED_PAD src0_sel:WORD_1 src1_sel:DWORD
	v_fma_f16 v0, v42, v3, v0
	v_cvt_f32_f16_e32 v0, v0
	v_and_b32_e32 v6, 0xffff, v6
	v_lshl_or_b32 v10, v7, 16, v6
	s_mul_i32 s2, s9, 0x3c8
	v_cvt_f64_f32_e32 v[0:1], v0
	s_mul_hi_u32 s3, s8, 0x3c8
	s_add_i32 s3, s3, s2
	s_mul_i32 s2, s8, 0x3c8
	v_mul_f64 v[6:7], v[0:1], s[6:7]
	s_lshl_b64 s[10:11], s[2:3], 2
	v_mov_b32_e32 v1, s11
	v_add_co_u32_e32 v4, vcc, s10, v4
	v_addc_co_u32_e32 v5, vcc, v5, v1, vcc
	global_store_dword v[4:5], v10, off
	v_and_or_b32 v0, v7, s14, v6
	v_cmp_ne_u32_e32 vcc, 0, v0
	v_cndmask_b32_e64 v0, 0, 1, vcc
	v_lshrrev_b32_e32 v6, 8, v7
	v_bfe_u32 v10, v7, 20, 11
	v_and_or_b32 v0, v6, s15, v0
	v_sub_u32_e32 v11, 0x3f1, v10
	v_or_b32_e32 v6, 0x1000, v0
	v_med3_i32 v11, v11, 0, 13
	v_lshrrev_b32_e32 v12, v11, v6
	v_lshlrev_b32_e32 v11, v11, v12
	v_cmp_ne_u32_e32 vcc, v11, v6
	v_mul_f16_sdwa v3, v42, v3 dst_sel:DWORD dst_unused:UNUSED_PAD src0_sel:WORD_1 src1_sel:DWORD
	v_cndmask_b32_e64 v6, 0, 1, vcc
	v_fma_f16 v3, v42, v8, -v3
	v_or_b32_e32 v6, v12, v6
	v_add_u32_e32 v12, 0xfffffc10, v10
	v_cvt_f32_f16_e32 v3, v3
	v_lshl_or_b32 v10, v12, 12, v0
	v_cmp_gt_i32_e32 vcc, 1, v12
	v_cndmask_b32_e32 v6, v10, v6, vcc
	v_and_b32_e32 v10, 7, v6
	v_cmp_lt_i32_e32 vcc, 5, v10
	v_cmp_eq_u32_e64 s[2:3], 3, v10
	v_cvt_f64_f32_e32 v[10:11], v3
	v_lshrrev_b32_e32 v6, 2, v6
	s_or_b64 vcc, s[2:3], vcc
	v_addc_co_u32_e32 v3, vcc, 0, v6, vcc
	v_mul_f64 v[10:11], v[10:11], s[6:7]
	v_cmp_gt_i32_e32 vcc, 31, v12
	v_cndmask_b32_e32 v3, v2, v3, vcc
	v_cmp_ne_u32_e32 vcc, 0, v0
	v_cndmask_b32_e64 v0, 0, 1, vcc
	v_lshl_or_b32 v0, v0, 9, v2
	v_cmp_eq_u32_e32 vcc, s16, v12
	v_cndmask_b32_e32 v0, v3, v0, vcc
	v_lshrrev_b32_e32 v3, 16, v7
	v_and_or_b32 v0, v3, s17, v0
	v_and_or_b32 v3, v11, s14, v10
	v_cmp_ne_u32_e32 vcc, 0, v3
	v_cndmask_b32_e64 v3, 0, 1, vcc
	v_lshrrev_b32_e32 v6, 8, v11
	v_bfe_u32 v7, v11, 20, 11
	v_and_or_b32 v3, v6, s15, v3
	v_sub_u32_e32 v8, 0x3f1, v7
	v_or_b32_e32 v6, 0x1000, v3
	v_med3_i32 v8, v8, 0, 13
	v_lshrrev_b32_e32 v10, v8, v6
	v_lshlrev_b32_e32 v8, v8, v10
	v_cmp_ne_u32_e32 vcc, v8, v6
	v_cndmask_b32_e64 v6, 0, 1, vcc
	v_add_u32_e32 v7, 0xfffffc10, v7
	v_or_b32_e32 v6, v10, v6
	v_lshl_or_b32 v8, v7, 12, v3
	v_cmp_gt_i32_e32 vcc, 1, v7
	v_cndmask_b32_e32 v6, v8, v6, vcc
	v_and_b32_e32 v8, 7, v6
	v_cmp_lt_i32_e32 vcc, 5, v8
	v_cmp_eq_u32_e64 s[2:3], 3, v8
	v_lshrrev_b32_e32 v6, 2, v6
	s_or_b64 vcc, s[2:3], vcc
	v_addc_co_u32_e32 v6, vcc, 0, v6, vcc
	v_cmp_gt_i32_e32 vcc, 31, v7
	v_cndmask_b32_e32 v6, v2, v6, vcc
	v_cmp_ne_u32_e32 vcc, 0, v3
	v_cndmask_b32_e64 v3, 0, 1, vcc
	v_lshl_or_b32 v3, v3, 9, v2
	v_cmp_eq_u32_e32 vcc, s16, v7
	v_cndmask_b32_e32 v3, v6, v3, vcc
	v_lshrrev_b32_e32 v6, 16, v11
	v_lshrrev_b32_e32 v8, 16, v9
	v_and_or_b32 v3, v6, s17, v3
	v_mul_f16_sdwa v6, v41, v8 dst_sel:DWORD dst_unused:UNUSED_PAD src0_sel:WORD_1 src1_sel:DWORD
	v_fma_f16 v6, v41, v9, v6
	v_cvt_f32_f16_e32 v6, v6
	s_mul_hi_u32 s3, s8, 0xfffffce8
	s_mul_i32 s2, s9, 0xfffffce8
	s_sub_i32 s3, s3, s8
	v_cvt_f64_f32_e32 v[6:7], v6
	s_add_i32 s3, s3, s2
	s_mul_i32 s2, s8, 0xfffffce8
	v_and_b32_e32 v0, 0xffff, v0
	v_mul_f64 v[6:7], v[6:7], s[6:7]
	s_lshl_b64 s[4:5], s[2:3], 2
	v_lshl_or_b32 v10, v3, 16, v0
	v_mov_b32_e32 v0, s5
	v_add_co_u32_e32 v3, vcc, s4, v4
	v_addc_co_u32_e32 v4, vcc, v5, v0, vcc
	v_and_or_b32 v5, v7, s14, v6
	v_cmp_ne_u32_e32 vcc, 0, v5
	v_cndmask_b32_e64 v5, 0, 1, vcc
	v_lshrrev_b32_e32 v6, 8, v7
	global_store_dword v[3:4], v10, off
	v_and_or_b32 v10, v6, s15, v5
	v_bfe_u32 v6, v7, 20, 11
	v_sub_u32_e32 v11, 0x3f1, v6
	v_or_b32_e32 v5, 0x1000, v10
	v_med3_i32 v11, v11, 0, 13
	v_lshrrev_b32_e32 v12, v11, v5
	v_lshlrev_b32_e32 v11, v11, v12
	v_mul_f16_sdwa v9, v41, v9 dst_sel:DWORD dst_unused:UNUSED_PAD src0_sel:WORD_1 src1_sel:DWORD
	v_cmp_ne_u32_e32 vcc, v11, v5
	v_fma_f16 v8, v41, v8, -v9
	v_cndmask_b32_e64 v5, 0, 1, vcc
	v_add_u32_e32 v11, 0xfffffc10, v6
	v_cvt_f32_f16_e32 v8, v8
	v_or_b32_e32 v5, v12, v5
	v_lshl_or_b32 v6, v11, 12, v10
	v_cmp_gt_i32_e32 vcc, 1, v11
	v_cndmask_b32_e32 v5, v6, v5, vcc
	v_and_b32_e32 v6, 7, v5
	v_cmp_lt_i32_e32 vcc, 5, v6
	v_cmp_eq_u32_e64 s[2:3], 3, v6
	v_lshrrev_b32_e32 v9, 2, v5
	v_cvt_f64_f32_e32 v[5:6], v8
	s_or_b64 vcc, s[2:3], vcc
	v_addc_co_u32_e32 v8, vcc, 0, v9, vcc
	v_mul_f64 v[5:6], v[5:6], s[6:7]
	v_cmp_gt_i32_e32 vcc, 31, v11
	v_cndmask_b32_e32 v8, v2, v8, vcc
	v_cmp_ne_u32_e32 vcc, 0, v10
	v_cndmask_b32_e64 v9, 0, 1, vcc
	v_lshl_or_b32 v9, v9, 9, v2
	v_cmp_eq_u32_e32 vcc, s16, v11
	v_cndmask_b32_e32 v8, v8, v9, vcc
	v_and_or_b32 v5, v6, s14, v5
	v_lshrrev_b32_e32 v7, 16, v7
	v_cmp_ne_u32_e32 vcc, 0, v5
	v_and_or_b32 v11, v7, s17, v8
	v_cndmask_b32_e64 v5, 0, 1, vcc
	v_lshrrev_b32_e32 v7, 8, v6
	v_bfe_u32 v8, v6, 20, 11
	v_and_or_b32 v5, v7, s15, v5
	v_sub_u32_e32 v9, 0x3f1, v8
	v_or_b32_e32 v7, 0x1000, v5
	v_med3_i32 v9, v9, 0, 13
	v_lshrrev_b32_e32 v10, v9, v7
	v_lshlrev_b32_e32 v9, v9, v10
	v_cmp_ne_u32_e32 vcc, v9, v7
	v_cndmask_b32_e64 v7, 0, 1, vcc
	v_add_u32_e32 v12, 0xfffffc10, v8
	v_or_b32_e32 v7, v10, v7
	v_lshl_or_b32 v8, v12, 12, v5
	v_cmp_gt_i32_e32 vcc, 1, v12
	v_cndmask_b32_e32 v7, v8, v7, vcc
	v_and_b32_e32 v8, 7, v7
	v_cmp_lt_i32_e32 vcc, 5, v8
	v_cmp_eq_u32_e64 s[2:3], 3, v8
	v_lshrrev_b32_e32 v9, 2, v7
	ds_read2_b32 v[7:8], v16 offset0:32 offset1:208
	s_or_b64 vcc, s[2:3], vcc
	v_addc_co_u32_e32 v9, vcc, 0, v9, vcc
	v_cmp_gt_i32_e32 vcc, 31, v12
	s_waitcnt lgkmcnt(0)
	v_lshrrev_b32_e32 v14, 16, v7
	v_cndmask_b32_e32 v13, v2, v9, vcc
	v_mul_f16_sdwa v9, v40, v14 dst_sel:DWORD dst_unused:UNUSED_PAD src0_sel:WORD_1 src1_sel:DWORD
	v_fma_f16 v9, v40, v7, v9
	v_cvt_f32_f16_e32 v9, v9
	v_cmp_ne_u32_e32 vcc, 0, v5
	v_cndmask_b32_e64 v5, 0, 1, vcc
	v_lshl_or_b32 v5, v5, 9, v2
	v_cvt_f64_f32_e32 v[9:10], v9
	v_cmp_eq_u32_e32 vcc, s16, v12
	v_cndmask_b32_e32 v5, v13, v5, vcc
	v_lshrrev_b32_e32 v6, 16, v6
	v_and_or_b32 v12, v6, s17, v5
	v_mul_f64 v[5:6], v[9:10], s[6:7]
	v_add_co_u32_e32 v3, vcc, s10, v3
	v_and_b32_e32 v9, 0xffff, v11
	v_addc_co_u32_e32 v4, vcc, v4, v1, vcc
	v_lshl_or_b32 v9, v12, 16, v9
	global_store_dword v[3:4], v9, off
	v_and_or_b32 v5, v6, s14, v5
	v_cmp_ne_u32_e32 vcc, 0, v5
	v_cndmask_b32_e64 v5, 0, 1, vcc
	v_lshrrev_b32_e32 v9, 8, v6
	v_bfe_u32 v10, v6, 20, 11
	v_and_or_b32 v5, v9, s15, v5
	v_sub_u32_e32 v11, 0x3f1, v10
	v_or_b32_e32 v9, 0x1000, v5
	v_med3_i32 v11, v11, 0, 13
	v_lshrrev_b32_e32 v12, v11, v9
	v_lshlrev_b32_e32 v11, v11, v12
	v_mul_f16_sdwa v7, v40, v7 dst_sel:DWORD dst_unused:UNUSED_PAD src0_sel:WORD_1 src1_sel:DWORD
	v_cmp_ne_u32_e32 vcc, v11, v9
	v_fma_f16 v7, v40, v14, -v7
	v_cndmask_b32_e64 v9, 0, 1, vcc
	v_add_u32_e32 v11, 0xfffffc10, v10
	v_cvt_f32_f16_e32 v7, v7
	v_or_b32_e32 v9, v12, v9
	v_lshl_or_b32 v10, v11, 12, v5
	v_cmp_gt_i32_e32 vcc, 1, v11
	v_cndmask_b32_e32 v9, v10, v9, vcc
	v_and_b32_e32 v10, 7, v9
	v_cmp_lt_i32_e32 vcc, 5, v10
	v_cmp_eq_u32_e64 s[2:3], 3, v10
	v_lshrrev_b32_e32 v12, 2, v9
	v_cvt_f64_f32_e32 v[9:10], v7
	s_or_b64 vcc, s[2:3], vcc
	v_addc_co_u32_e32 v7, vcc, 0, v12, vcc
	v_mul_f64 v[9:10], v[9:10], s[6:7]
	v_cmp_gt_i32_e32 vcc, 31, v11
	v_cndmask_b32_e32 v7, v2, v7, vcc
	v_cmp_ne_u32_e32 vcc, 0, v5
	v_cndmask_b32_e64 v5, 0, 1, vcc
	v_lshl_or_b32 v5, v5, 9, v2
	v_cmp_eq_u32_e32 vcc, s16, v11
	v_cndmask_b32_e32 v5, v7, v5, vcc
	v_lshrrev_b32_e32 v6, 16, v6
	v_and_or_b32 v7, v6, s17, v5
	v_and_or_b32 v5, v10, s14, v9
	v_cmp_ne_u32_e32 vcc, 0, v5
	v_cndmask_b32_e64 v5, 0, 1, vcc
	v_lshrrev_b32_e32 v6, 8, v10
	v_and_or_b32 v9, v6, s15, v5
	v_bfe_u32 v6, v10, 20, 11
	v_sub_u32_e32 v11, 0x3f1, v6
	v_or_b32_e32 v5, 0x1000, v9
	v_med3_i32 v11, v11, 0, 13
	v_lshrrev_b32_e32 v12, v11, v5
	v_lshlrev_b32_e32 v11, v11, v12
	v_cmp_ne_u32_e32 vcc, v11, v5
	v_cndmask_b32_e64 v5, 0, 1, vcc
	v_add_u32_e32 v13, 0xfffffc10, v6
	v_or_b32_e32 v5, v12, v5
	v_lshl_or_b32 v6, v13, 12, v9
	v_cmp_gt_i32_e32 vcc, 1, v13
	v_cndmask_b32_e32 v5, v6, v5, vcc
	v_and_b32_e32 v6, 7, v5
	v_lshrrev_b32_e32 v11, 2, v5
	v_add_u32_e32 v5, 0x1400, v34
	v_cmp_lt_i32_e32 vcc, 5, v6
	v_cmp_eq_u32_e64 s[2:3], 3, v6
	ds_read2_b32 v[5:6], v5 offset0:40 offset1:216
	s_or_b64 vcc, s[2:3], vcc
	v_addc_co_u32_e32 v11, vcc, 0, v11, vcc
	v_cmp_gt_i32_e32 vcc, 31, v13
	s_waitcnt lgkmcnt(0)
	v_lshrrev_b32_e32 v15, 16, v5
	v_cndmask_b32_e32 v14, v2, v11, vcc
	v_mul_f16_sdwa v11, v39, v15 dst_sel:DWORD dst_unused:UNUSED_PAD src0_sel:WORD_1 src1_sel:DWORD
	v_fma_f16 v11, v39, v5, v11
	v_cvt_f32_f16_e32 v11, v11
	v_cmp_ne_u32_e32 vcc, 0, v9
	v_cndmask_b32_e64 v9, 0, 1, vcc
	v_lshl_or_b32 v9, v9, 9, v2
	v_cvt_f64_f32_e32 v[11:12], v11
	v_cmp_eq_u32_e32 vcc, s16, v13
	v_cndmask_b32_e32 v9, v14, v9, vcc
	v_lshrrev_b32_e32 v10, 16, v10
	v_and_or_b32 v13, v10, s17, v9
	v_mul_f64 v[9:10], v[11:12], s[6:7]
	v_and_b32_e32 v7, 0xffff, v7
	v_add_co_u32_e32 v3, vcc, s4, v3
	v_lshl_or_b32 v7, v13, 16, v7
	v_addc_co_u32_e32 v4, vcc, v4, v0, vcc
	global_store_dword v[3:4], v7, off
	v_and_or_b32 v7, v10, s14, v9
	v_cmp_ne_u32_e32 vcc, 0, v7
	v_cndmask_b32_e64 v7, 0, 1, vcc
	v_lshrrev_b32_e32 v9, 8, v10
	v_bfe_u32 v11, v10, 20, 11
	v_and_or_b32 v7, v9, s15, v7
	v_sub_u32_e32 v12, 0x3f1, v11
	v_or_b32_e32 v9, 0x1000, v7
	v_med3_i32 v12, v12, 0, 13
	v_lshrrev_b32_e32 v13, v12, v9
	v_lshlrev_b32_e32 v12, v12, v13
	v_cmp_ne_u32_e32 vcc, v12, v9
	v_mul_f16_sdwa v5, v39, v5 dst_sel:DWORD dst_unused:UNUSED_PAD src0_sel:WORD_1 src1_sel:DWORD
	v_cndmask_b32_e64 v9, 0, 1, vcc
	v_fma_f16 v5, v39, v15, -v5
	v_or_b32_e32 v9, v13, v9
	v_add_u32_e32 v13, 0xfffffc10, v11
	v_cvt_f32_f16_e32 v5, v5
	v_lshl_or_b32 v11, v13, 12, v7
	v_cmp_gt_i32_e32 vcc, 1, v13
	v_cndmask_b32_e32 v9, v11, v9, vcc
	v_and_b32_e32 v11, 7, v9
	v_cmp_lt_i32_e32 vcc, 5, v11
	v_cmp_eq_u32_e64 s[2:3], 3, v11
	v_cvt_f64_f32_e32 v[11:12], v5
	v_lshrrev_b32_e32 v9, 2, v9
	s_or_b64 vcc, s[2:3], vcc
	v_addc_co_u32_e32 v5, vcc, 0, v9, vcc
	v_mul_f64 v[11:12], v[11:12], s[6:7]
	v_cmp_gt_i32_e32 vcc, 31, v13
	v_cndmask_b32_e32 v5, v2, v5, vcc
	v_cmp_ne_u32_e32 vcc, 0, v7
	v_cndmask_b32_e64 v7, 0, 1, vcc
	v_lshl_or_b32 v7, v7, 9, v2
	v_cmp_eq_u32_e32 vcc, s16, v13
	v_cndmask_b32_e32 v5, v5, v7, vcc
	v_lshrrev_b32_e32 v7, 16, v10
	v_and_or_b32 v5, v7, s17, v5
	v_and_or_b32 v7, v12, s14, v11
	v_cmp_ne_u32_e32 vcc, 0, v7
	v_cndmask_b32_e64 v7, 0, 1, vcc
	v_lshrrev_b32_e32 v9, 8, v12
	v_bfe_u32 v10, v12, 20, 11
	v_and_or_b32 v7, v9, s15, v7
	v_sub_u32_e32 v11, 0x3f1, v10
	v_or_b32_e32 v9, 0x1000, v7
	v_med3_i32 v11, v11, 0, 13
	v_lshrrev_b32_e32 v13, v11, v9
	v_lshlrev_b32_e32 v11, v11, v13
	v_cmp_ne_u32_e32 vcc, v11, v9
	v_cndmask_b32_e64 v9, 0, 1, vcc
	v_add_u32_e32 v11, 0xfffffc10, v10
	v_or_b32_e32 v9, v13, v9
	v_lshl_or_b32 v10, v11, 12, v7
	v_cmp_gt_i32_e32 vcc, 1, v11
	v_cndmask_b32_e32 v9, v10, v9, vcc
	v_and_b32_e32 v10, 7, v9
	v_cmp_lt_i32_e32 vcc, 5, v10
	v_cmp_eq_u32_e64 s[2:3], 3, v10
	v_lshrrev_b32_e32 v9, 2, v9
	s_or_b64 vcc, s[2:3], vcc
	v_addc_co_u32_e32 v9, vcc, 0, v9, vcc
	v_cmp_gt_i32_e32 vcc, 31, v11
	v_lshrrev_b32_e32 v14, 16, v8
	v_cndmask_b32_e32 v13, v2, v9, vcc
	v_mul_f16_sdwa v9, v38, v14 dst_sel:DWORD dst_unused:UNUSED_PAD src0_sel:WORD_1 src1_sel:DWORD
	v_fma_f16 v9, v38, v8, v9
	v_cvt_f32_f16_e32 v9, v9
	v_cmp_ne_u32_e32 vcc, 0, v7
	v_cndmask_b32_e64 v7, 0, 1, vcc
	v_lshl_or_b32 v7, v7, 9, v2
	v_cvt_f64_f32_e32 v[9:10], v9
	v_cmp_eq_u32_e32 vcc, s16, v11
	v_cndmask_b32_e32 v7, v13, v7, vcc
	v_lshrrev_b32_e32 v11, 16, v12
	v_mul_f64 v[9:10], v[9:10], s[6:7]
	v_and_or_b32 v7, v11, s17, v7
	v_and_b32_e32 v5, 0xffff, v5
	v_add_co_u32_e32 v3, vcc, s10, v3
	v_lshl_or_b32 v5, v7, 16, v5
	v_addc_co_u32_e32 v4, vcc, v4, v1, vcc
	global_store_dword v[3:4], v5, off
	v_and_or_b32 v5, v10, s14, v9
	v_cmp_ne_u32_e32 vcc, 0, v5
	v_cndmask_b32_e64 v5, 0, 1, vcc
	v_lshrrev_b32_e32 v7, 8, v10
	v_bfe_u32 v9, v10, 20, 11
	v_and_or_b32 v5, v7, s15, v5
	v_sub_u32_e32 v11, 0x3f1, v9
	v_or_b32_e32 v7, 0x1000, v5
	v_med3_i32 v11, v11, 0, 13
	v_lshrrev_b32_e32 v12, v11, v7
	v_lshlrev_b32_e32 v11, v11, v12
	v_mul_f16_sdwa v8, v38, v8 dst_sel:DWORD dst_unused:UNUSED_PAD src0_sel:WORD_1 src1_sel:DWORD
	v_cmp_ne_u32_e32 vcc, v11, v7
	v_fma_f16 v8, v38, v14, -v8
	v_cndmask_b32_e64 v7, 0, 1, vcc
	v_add_u32_e32 v9, 0xfffffc10, v9
	v_cvt_f32_f16_e32 v8, v8
	v_or_b32_e32 v7, v12, v7
	v_lshl_or_b32 v11, v9, 12, v5
	v_cmp_gt_i32_e32 vcc, 1, v9
	v_cndmask_b32_e32 v7, v11, v7, vcc
	v_and_b32_e32 v11, 7, v7
	v_cmp_lt_i32_e32 vcc, 5, v11
	v_cmp_eq_u32_e64 s[2:3], 3, v11
	v_lshrrev_b32_e32 v11, 2, v7
	v_cvt_f64_f32_e32 v[7:8], v8
	s_or_b64 vcc, s[2:3], vcc
	v_addc_co_u32_e32 v11, vcc, 0, v11, vcc
	v_mul_f64 v[7:8], v[7:8], s[6:7]
	v_cmp_gt_i32_e32 vcc, 31, v9
	v_cndmask_b32_e32 v11, v2, v11, vcc
	v_cmp_ne_u32_e32 vcc, 0, v5
	v_cndmask_b32_e64 v5, 0, 1, vcc
	v_lshl_or_b32 v5, v5, 9, v2
	v_cmp_eq_u32_e32 vcc, s16, v9
	v_cndmask_b32_e32 v5, v11, v5, vcc
	v_and_or_b32 v7, v8, s14, v7
	v_lshrrev_b32_e32 v9, 16, v10
	v_cmp_ne_u32_e32 vcc, 0, v7
	v_and_or_b32 v5, v9, s17, v5
	v_cndmask_b32_e64 v7, 0, 1, vcc
	v_lshrrev_b32_e32 v9, 8, v8
	v_bfe_u32 v10, v8, 20, 11
	v_and_or_b32 v7, v9, s15, v7
	v_sub_u32_e32 v11, 0x3f1, v10
	v_or_b32_e32 v9, 0x1000, v7
	v_med3_i32 v11, v11, 0, 13
	v_lshrrev_b32_e32 v12, v11, v9
	v_lshlrev_b32_e32 v11, v11, v12
	v_cmp_ne_u32_e32 vcc, v11, v9
	v_cndmask_b32_e64 v9, 0, 1, vcc
	v_add_u32_e32 v11, 0xfffffc10, v10
	v_or_b32_e32 v9, v12, v9
	v_lshl_or_b32 v10, v11, 12, v7
	v_cmp_gt_i32_e32 vcc, 1, v11
	v_cndmask_b32_e32 v9, v10, v9, vcc
	v_and_b32_e32 v10, 7, v9
	v_cmp_lt_i32_e32 vcc, 5, v10
	v_cmp_eq_u32_e64 s[2:3], 3, v10
	v_lshrrev_b32_e32 v9, 2, v9
	s_or_b64 vcc, s[2:3], vcc
	v_addc_co_u32_e32 v9, vcc, 0, v9, vcc
	v_cmp_gt_i32_e32 vcc, 31, v11
	v_lshrrev_b32_e32 v13, 16, v6
	v_cndmask_b32_e32 v12, v2, v9, vcc
	v_mul_f16_sdwa v9, v37, v13 dst_sel:DWORD dst_unused:UNUSED_PAD src0_sel:WORD_1 src1_sel:DWORD
	v_fma_f16 v9, v37, v6, v9
	v_cvt_f32_f16_e32 v9, v9
	v_cmp_ne_u32_e32 vcc, 0, v7
	v_cndmask_b32_e64 v7, 0, 1, vcc
	v_lshl_or_b32 v7, v7, 9, v2
	v_cvt_f64_f32_e32 v[9:10], v9
	v_cmp_eq_u32_e32 vcc, s16, v11
	v_cndmask_b32_e32 v7, v12, v7, vcc
	v_lshrrev_b32_e32 v8, 16, v8
	v_and_or_b32 v11, v8, s17, v7
	v_mul_f64 v[7:8], v[9:10], s[6:7]
	v_and_b32_e32 v5, 0xffff, v5
	v_add_co_u32_e32 v3, vcc, s4, v3
	v_lshl_or_b32 v5, v11, 16, v5
	v_addc_co_u32_e32 v4, vcc, v4, v0, vcc
	global_store_dword v[3:4], v5, off
	v_and_or_b32 v5, v8, s14, v7
	v_cmp_ne_u32_e32 vcc, 0, v5
	v_cndmask_b32_e64 v5, 0, 1, vcc
	v_lshrrev_b32_e32 v7, 8, v8
	v_bfe_u32 v9, v8, 20, 11
	v_and_or_b32 v7, v7, s15, v5
	v_sub_u32_e32 v10, 0x3f1, v9
	v_or_b32_e32 v5, 0x1000, v7
	v_med3_i32 v10, v10, 0, 13
	v_lshrrev_b32_e32 v11, v10, v5
	v_lshlrev_b32_e32 v10, v10, v11
	v_mul_f16_sdwa v6, v37, v6 dst_sel:DWORD dst_unused:UNUSED_PAD src0_sel:WORD_1 src1_sel:DWORD
	v_cmp_ne_u32_e32 vcc, v10, v5
	v_fma_f16 v6, v37, v13, -v6
	v_cndmask_b32_e64 v5, 0, 1, vcc
	v_add_u32_e32 v9, 0xfffffc10, v9
	v_cvt_f32_f16_e32 v6, v6
	v_or_b32_e32 v5, v11, v5
	v_lshl_or_b32 v10, v9, 12, v7
	v_cmp_gt_i32_e32 vcc, 1, v9
	v_cndmask_b32_e32 v5, v10, v5, vcc
	v_and_b32_e32 v10, 7, v5
	v_cmp_lt_i32_e32 vcc, 5, v10
	v_cmp_eq_u32_e64 s[2:3], 3, v10
	v_lshrrev_b32_e32 v10, 2, v5
	v_cvt_f64_f32_e32 v[5:6], v6
	s_or_b64 vcc, s[2:3], vcc
	v_addc_co_u32_e32 v10, vcc, 0, v10, vcc
	v_mul_f64 v[5:6], v[5:6], s[6:7]
	v_cmp_gt_i32_e32 vcc, 31, v9
	v_cndmask_b32_e32 v10, v2, v10, vcc
	v_cmp_ne_u32_e32 vcc, 0, v7
	v_cndmask_b32_e64 v7, 0, 1, vcc
	v_lshl_or_b32 v7, v7, 9, v2
	v_cmp_eq_u32_e32 vcc, s16, v9
	v_cndmask_b32_e32 v7, v10, v7, vcc
	v_and_or_b32 v5, v6, s14, v5
	v_lshrrev_b32_e32 v8, 16, v8
	v_cmp_ne_u32_e32 vcc, 0, v5
	v_and_or_b32 v9, v8, s17, v7
	v_cndmask_b32_e64 v5, 0, 1, vcc
	v_lshrrev_b32_e32 v7, 8, v6
	v_bfe_u32 v8, v6, 20, 11
	v_and_or_b32 v5, v7, s15, v5
	v_sub_u32_e32 v10, 0x3f1, v8
	v_or_b32_e32 v7, 0x1000, v5
	v_med3_i32 v10, v10, 0, 13
	v_lshrrev_b32_e32 v11, v10, v7
	v_lshlrev_b32_e32 v10, v10, v11
	v_cmp_ne_u32_e32 vcc, v10, v7
	v_cndmask_b32_e64 v7, 0, 1, vcc
	v_add_u32_e32 v10, 0xfffffc10, v8
	v_or_b32_e32 v7, v11, v7
	v_lshl_or_b32 v8, v10, 12, v5
	v_cmp_gt_i32_e32 vcc, 1, v10
	v_cndmask_b32_e32 v7, v8, v7, vcc
	ds_read_b32 v11, v34 offset:2816
	ds_read_b32 v13, v34 offset:6688
	v_and_b32_e32 v8, 7, v7
	v_cmp_lt_i32_e32 vcc, 5, v8
	v_cmp_eq_u32_e64 s[2:3], 3, v8
	v_lshrrev_b32_e32 v7, 2, v7
	s_or_b64 vcc, s[2:3], vcc
	v_addc_co_u32_e32 v7, vcc, 0, v7, vcc
	v_cmp_gt_i32_e32 vcc, 31, v10
	s_waitcnt lgkmcnt(1)
	v_lshrrev_b32_e32 v14, 16, v11
	v_cndmask_b32_e32 v12, v2, v7, vcc
	v_mul_f16_sdwa v7, v36, v14 dst_sel:DWORD dst_unused:UNUSED_PAD src0_sel:WORD_1 src1_sel:DWORD
	v_fma_f16 v7, v36, v11, v7
	v_cvt_f32_f16_e32 v7, v7
	v_cmp_ne_u32_e32 vcc, 0, v5
	v_cndmask_b32_e64 v5, 0, 1, vcc
	v_lshl_or_b32 v5, v5, 9, v2
	v_cvt_f64_f32_e32 v[7:8], v7
	v_cmp_eq_u32_e32 vcc, s16, v10
	v_cndmask_b32_e32 v5, v12, v5, vcc
	v_lshrrev_b32_e32 v6, 16, v6
	v_and_or_b32 v10, v6, s17, v5
	v_mul_f64 v[5:6], v[7:8], s[6:7]
	v_add_co_u32_e32 v3, vcc, s10, v3
	v_and_b32_e32 v7, 0xffff, v9
	v_addc_co_u32_e32 v4, vcc, v4, v1, vcc
	v_lshl_or_b32 v7, v10, 16, v7
	global_store_dword v[3:4], v7, off
	v_and_or_b32 v5, v6, s14, v5
	v_cmp_ne_u32_e32 vcc, 0, v5
	v_cndmask_b32_e64 v5, 0, 1, vcc
	v_lshrrev_b32_e32 v7, 8, v6
	v_bfe_u32 v8, v6, 20, 11
	v_and_or_b32 v5, v7, s15, v5
	v_sub_u32_e32 v9, 0x3f1, v8
	v_or_b32_e32 v7, 0x1000, v5
	v_med3_i32 v9, v9, 0, 13
	v_lshrrev_b32_e32 v10, v9, v7
	v_lshlrev_b32_e32 v9, v9, v10
	v_cmp_ne_u32_e32 vcc, v9, v7
	v_cndmask_b32_e64 v7, 0, 1, vcc
	v_or_b32_e32 v7, v10, v7
	v_mul_f16_sdwa v10, v36, v11 dst_sel:DWORD dst_unused:UNUSED_PAD src0_sel:WORD_1 src1_sel:DWORD
	v_fma_f16 v10, v36, v14, -v10
	v_add_u32_e32 v9, 0xfffffc10, v8
	v_cvt_f32_f16_e32 v10, v10
	v_lshl_or_b32 v8, v9, 12, v5
	v_cmp_gt_i32_e32 vcc, 1, v9
	v_cndmask_b32_e32 v7, v8, v7, vcc
	v_and_b32_e32 v8, 7, v7
	v_cmp_lt_i32_e32 vcc, 5, v8
	v_cmp_eq_u32_e64 s[2:3], 3, v8
	v_lshrrev_b32_e32 v11, 2, v7
	v_cvt_f64_f32_e32 v[7:8], v10
	s_or_b64 vcc, s[2:3], vcc
	v_addc_co_u32_e32 v10, vcc, 0, v11, vcc
	v_mul_f64 v[7:8], v[7:8], s[6:7]
	v_cmp_gt_i32_e32 vcc, 31, v9
	v_cndmask_b32_e32 v10, v2, v10, vcc
	v_cmp_ne_u32_e32 vcc, 0, v5
	v_cndmask_b32_e64 v5, 0, 1, vcc
	v_lshl_or_b32 v5, v5, 9, v2
	v_cmp_eq_u32_e32 vcc, s16, v9
	v_cndmask_b32_e32 v5, v10, v5, vcc
	v_lshrrev_b32_e32 v6, 16, v6
	v_and_or_b32 v9, v6, s17, v5
	v_and_or_b32 v5, v8, s14, v7
	v_cmp_ne_u32_e32 vcc, 0, v5
	v_cndmask_b32_e64 v5, 0, 1, vcc
	v_lshrrev_b32_e32 v6, 8, v8
	v_bfe_u32 v7, v8, 20, 11
	v_and_or_b32 v5, v6, s15, v5
	v_sub_u32_e32 v10, 0x3f1, v7
	v_or_b32_e32 v6, 0x1000, v5
	v_med3_i32 v10, v10, 0, 13
	v_lshrrev_b32_e32 v11, v10, v6
	v_lshlrev_b32_e32 v10, v10, v11
	v_cmp_ne_u32_e32 vcc, v10, v6
	v_cndmask_b32_e64 v6, 0, 1, vcc
	v_add_u32_e32 v7, 0xfffffc10, v7
	v_or_b32_e32 v6, v11, v6
	v_lshl_or_b32 v10, v7, 12, v5
	v_cmp_gt_i32_e32 vcc, 1, v7
	v_cndmask_b32_e32 v6, v10, v6, vcc
	v_and_b32_e32 v10, 7, v6
	v_cmp_lt_i32_e32 vcc, 5, v10
	v_cmp_eq_u32_e64 s[2:3], 3, v10
	v_lshrrev_b32_e32 v6, 2, v6
	s_or_b64 vcc, s[2:3], vcc
	v_addc_co_u32_e32 v6, vcc, 0, v6, vcc
	v_cmp_gt_i32_e32 vcc, 31, v7
	s_waitcnt lgkmcnt(0)
	v_lshrrev_b32_e32 v11, 16, v13
	v_cndmask_b32_e32 v10, v2, v6, vcc
	v_mul_f16_sdwa v6, v35, v11 dst_sel:DWORD dst_unused:UNUSED_PAD src0_sel:WORD_1 src1_sel:DWORD
	v_fma_f16 v6, v35, v13, v6
	v_cvt_f32_f16_e32 v6, v6
	v_cmp_ne_u32_e32 vcc, 0, v5
	v_cndmask_b32_e64 v5, 0, 1, vcc
	v_lshl_or_b32 v12, v5, 9, v2
	v_cvt_f64_f32_e32 v[5:6], v6
	v_cmp_eq_u32_e32 vcc, s16, v7
	v_cndmask_b32_e32 v7, v10, v12, vcc
	v_lshrrev_b32_e32 v8, 16, v8
	v_mul_f64 v[5:6], v[5:6], s[6:7]
	v_add_co_u32_e32 v3, vcc, s4, v3
	v_and_or_b32 v7, v8, s17, v7
	v_and_b32_e32 v8, 0xffff, v9
	v_addc_co_u32_e32 v4, vcc, v4, v0, vcc
	v_lshl_or_b32 v7, v7, 16, v8
	v_and_or_b32 v0, v6, s14, v5
	v_cmp_ne_u32_e32 vcc, 0, v0
	global_store_dword v[3:4], v7, off
	v_cndmask_b32_e64 v0, 0, 1, vcc
	v_lshrrev_b32_e32 v5, 8, v6
	v_bfe_u32 v7, v6, 20, 11
	v_and_or_b32 v0, v5, s15, v0
	v_sub_u32_e32 v8, 0x3f1, v7
	v_or_b32_e32 v5, 0x1000, v0
	v_med3_i32 v8, v8, 0, 13
	v_lshrrev_b32_e32 v9, v8, v5
	v_lshlrev_b32_e32 v8, v8, v9
	v_cmp_ne_u32_e32 vcc, v8, v5
	v_mul_f16_sdwa v8, v35, v13 dst_sel:DWORD dst_unused:UNUSED_PAD src0_sel:WORD_1 src1_sel:DWORD
	v_cndmask_b32_e64 v5, 0, 1, vcc
	v_fma_f16 v8, v35, v11, -v8
	v_or_b32_e32 v5, v9, v5
	v_add_u32_e32 v9, 0xfffffc10, v7
	v_cvt_f32_f16_e32 v8, v8
	v_lshl_or_b32 v7, v9, 12, v0
	v_cmp_gt_i32_e32 vcc, 1, v9
	v_cndmask_b32_e32 v5, v7, v5, vcc
	v_and_b32_e32 v7, 7, v5
	v_cmp_lt_i32_e32 vcc, 5, v7
	v_cmp_eq_u32_e64 s[2:3], 3, v7
	v_cvt_f64_f32_e32 v[7:8], v8
	v_lshrrev_b32_e32 v5, 2, v5
	s_or_b64 vcc, s[2:3], vcc
	v_addc_co_u32_e32 v5, vcc, 0, v5, vcc
	v_mul_f64 v[7:8], v[7:8], s[6:7]
	v_cmp_gt_i32_e32 vcc, 31, v9
	v_cndmask_b32_e32 v5, v2, v5, vcc
	v_cmp_ne_u32_e32 vcc, 0, v0
	v_cndmask_b32_e64 v0, 0, 1, vcc
	v_lshl_or_b32 v0, v0, 9, v2
	v_cmp_eq_u32_e32 vcc, s16, v9
	v_cndmask_b32_e32 v0, v5, v0, vcc
	v_lshrrev_b32_e32 v5, 16, v6
	v_and_or_b32 v0, v5, s17, v0
	v_and_or_b32 v5, v8, s14, v7
	v_cmp_ne_u32_e32 vcc, 0, v5
	v_cndmask_b32_e64 v5, 0, 1, vcc
	v_lshrrev_b32_e32 v6, 8, v8
	v_bfe_u32 v7, v8, 20, 11
	v_and_or_b32 v5, v6, s15, v5
	v_sub_u32_e32 v9, 0x3f1, v7
	v_or_b32_e32 v6, 0x1000, v5
	v_med3_i32 v9, v9, 0, 13
	v_lshrrev_b32_e32 v10, v9, v6
	v_lshlrev_b32_e32 v9, v9, v10
	v_cmp_ne_u32_e32 vcc, v9, v6
	v_cndmask_b32_e64 v6, 0, 1, vcc
	v_add_u32_e32 v7, 0xfffffc10, v7
	v_or_b32_e32 v6, v10, v6
	v_lshl_or_b32 v9, v7, 12, v5
	v_cmp_gt_i32_e32 vcc, 1, v7
	v_cndmask_b32_e32 v6, v9, v6, vcc
	v_and_b32_e32 v9, 7, v6
	v_cmp_lt_i32_e32 vcc, 5, v9
	v_cmp_eq_u32_e64 s[2:3], 3, v9
	v_lshrrev_b32_e32 v6, 2, v6
	s_or_b64 vcc, s[2:3], vcc
	v_addc_co_u32_e32 v6, vcc, 0, v6, vcc
	v_cmp_gt_i32_e32 vcc, 31, v7
	v_cndmask_b32_e32 v6, v2, v6, vcc
	v_cmp_ne_u32_e32 vcc, 0, v5
	v_cndmask_b32_e64 v5, 0, 1, vcc
	v_lshl_or_b32 v5, v5, 9, v2
	v_cmp_eq_u32_e32 vcc, s16, v7
	v_cndmask_b32_e32 v5, v6, v5, vcc
	v_lshrrev_b32_e32 v6, 16, v8
	v_and_or_b32 v5, v6, s17, v5
	v_and_b32_e32 v0, 0xffff, v0
	v_lshl_or_b32 v5, v5, 16, v0
	v_add_co_u32_e32 v0, vcc, s10, v3
	v_addc_co_u32_e32 v1, vcc, v4, v1, vcc
	global_store_dword v[0:1], v5, off
	s_and_b64 exec, exec, s[0:1]
	s_cbranch_execz .LBB0_31
; %bb.30:
	global_load_dword v5, v[19:20], off offset:3520
	v_add_co_u32_e32 v3, vcc, s18, v19
	v_addc_co_u32_e32 v4, vcc, 0, v20, vcc
	global_load_dword v9, v[3:4], off offset:3296
	ds_read_b32 v3, v34 offset:3520
	ds_read_b32 v10, v34 offset:7392
	v_mov_b32_e32 v12, s5
	v_add_co_u32_e32 v0, vcc, s4, v0
	s_waitcnt lgkmcnt(1)
	v_lshrrev_b32_e32 v4, 16, v3
	s_waitcnt lgkmcnt(0)
	v_lshrrev_b32_e32 v11, 16, v10
	v_addc_co_u32_e32 v1, vcc, v1, v12, vcc
	s_waitcnt vmcnt(1)
	v_mul_f16_sdwa v6, v4, v5 dst_sel:DWORD dst_unused:UNUSED_PAD src0_sel:DWORD src1_sel:WORD_1
	v_mul_f16_sdwa v7, v3, v5 dst_sel:DWORD dst_unused:UNUSED_PAD src0_sel:DWORD src1_sel:WORD_1
	v_fma_f16 v3, v3, v5, v6
	v_fma_f16 v4, v5, v4, -v7
	v_cvt_f32_f16_e32 v3, v3
	s_waitcnt vmcnt(0)
	v_mul_f16_sdwa v5, v11, v9 dst_sel:DWORD dst_unused:UNUSED_PAD src0_sel:DWORD src1_sel:WORD_1
	v_cvt_f32_f16_e32 v6, v4
	v_fma_f16 v5, v10, v9, v5
	v_cvt_f32_f16_e32 v7, v5
	v_cvt_f64_f32_e32 v[3:4], v3
	v_cvt_f64_f32_e32 v[5:6], v6
	;; [unrolled: 1-line block ×3, first 2 shown]
	v_mul_f64 v[3:4], v[3:4], s[6:7]
	v_mul_f64 v[5:6], v[5:6], s[6:7]
	;; [unrolled: 1-line block ×3, first 2 shown]
	v_and_or_b32 v3, v4, s14, v3
	v_and_or_b32 v5, v6, s14, v5
	v_cmp_ne_u32_e32 vcc, 0, v3
	v_lshrrev_b32_e32 v12, 8, v4
	v_bfe_u32 v13, v4, 20, 11
	v_bfe_u32 v15, v6, 20, 11
	v_cndmask_b32_e64 v3, 0, 1, vcc
	v_cmp_ne_u32_e32 vcc, 0, v5
	v_and_or_b32 v7, v8, s14, v7
	v_lshrrev_b32_e32 v14, 8, v6
	v_sub_u32_e32 v16, 0x3f1, v13
	v_cndmask_b32_e64 v5, 0, 1, vcc
	v_sub_u32_e32 v17, 0x3f1, v15
	v_bfe_u32 v19, v8, 20, 11
	v_and_or_b32 v3, v12, s15, v3
	v_cmp_ne_u32_e32 vcc, 0, v7
	v_lshrrev_b32_e32 v18, 8, v8
	v_med3_i32 v12, v16, 0, 13
	v_and_or_b32 v5, v14, s15, v5
	v_med3_i32 v14, v17, 0, 13
	v_cndmask_b32_e64 v7, 0, 1, vcc
	v_sub_u32_e32 v16, 0x3f1, v19
	v_add_u32_e32 v17, 0xfffffc10, v19
	v_or_b32_e32 v19, 0x1000, v3
	v_add_u32_e32 v13, 0xfffffc10, v13
	v_cmp_ne_u32_e32 vcc, 0, v3
	v_or_b32_e32 v21, 0x1000, v5
	v_and_or_b32 v7, v18, s15, v7
	v_lshrrev_b32_e32 v18, v12, v19
	v_add_u32_e32 v15, 0xfffffc10, v15
	v_lshl_or_b32 v20, v13, 12, v3
	v_cndmask_b32_e64 v3, 0, 1, vcc
	v_cmp_ne_u32_e32 vcc, 0, v5
	v_med3_i32 v16, v16, 0, 13
	v_lshrrev_b32_e32 v23, v14, v21
	v_or_b32_e32 v24, 0x1000, v7
	v_lshlrev_b32_e32 v12, v12, v18
	v_lshl_or_b32 v22, v15, 12, v5
	v_cndmask_b32_e64 v5, 0, 1, vcc
	v_lshlrev_b32_e32 v14, v14, v23
	v_lshrrev_b32_e32 v25, v16, v24
	v_cmp_ne_u32_e32 vcc, v12, v19
	v_cndmask_b32_e64 v12, 0, 1, vcc
	v_cmp_ne_u32_e32 vcc, v14, v21
	v_lshlrev_b32_e32 v16, v16, v25
	v_cndmask_b32_e64 v14, 0, 1, vcc
	v_cmp_ne_u32_e32 vcc, v16, v24
	v_or_b32_e32 v12, v18, v12
	v_cndmask_b32_e64 v16, 0, 1, vcc
	v_cmp_gt_i32_e32 vcc, 1, v13
	v_cndmask_b32_e32 v12, v20, v12, vcc
	v_or_b32_e32 v14, v23, v14
	v_cmp_gt_i32_e32 vcc, 1, v15
	v_and_b32_e32 v18, 7, v12
	v_cndmask_b32_e32 v14, v22, v14, vcc
	v_cmp_lt_i32_e32 vcc, 5, v18
	v_cmp_eq_u32_e64 s[0:1], 3, v18
	v_lshrrev_b32_e32 v12, 2, v12
	v_and_b32_e32 v19, 7, v14
	s_or_b64 vcc, s[0:1], vcc
	v_cmp_lt_i32_e64 s[2:3], 5, v19
	v_cmp_eq_u32_e64 s[4:5], 3, v19
	v_addc_co_u32_e32 v12, vcc, 0, v12, vcc
	v_lshrrev_b32_e32 v14, 2, v14
	s_or_b64 vcc, s[4:5], s[2:3]
	v_addc_co_u32_e32 v14, vcc, 0, v14, vcc
	v_cmp_gt_i32_e32 vcc, 31, v13
	v_cndmask_b32_e32 v12, v2, v12, vcc
	v_cmp_gt_i32_e32 vcc, 31, v15
	v_lshl_or_b32 v3, v3, 9, v2
	v_cndmask_b32_e32 v14, v2, v14, vcc
	v_cmp_eq_u32_e32 vcc, s16, v13
	v_lshl_or_b32 v5, v5, 9, v2
	v_cndmask_b32_e32 v3, v12, v3, vcc
	v_cmp_eq_u32_e32 vcc, s16, v15
	v_lshrrev_b32_e32 v4, 16, v4
	v_lshrrev_b32_e32 v6, 16, v6
	v_cndmask_b32_e32 v5, v14, v5, vcc
	v_and_or_b32 v3, v4, s17, v3
	v_and_or_b32 v4, v6, s17, v5
	v_mul_f16_sdwa v5, v10, v9 dst_sel:DWORD dst_unused:UNUSED_PAD src0_sel:DWORD src1_sel:WORD_1
	v_and_b32_e32 v3, 0xffff, v3
	v_fma_f16 v5, v9, v11, -v5
	v_lshl_or_b32 v3, v4, 16, v3
	v_cvt_f32_f16_e32 v5, v5
	v_or_b32_e32 v16, v25, v16
	global_store_dword v[0:1], v3, off
	v_lshl_or_b32 v3, v17, 12, v7
	v_cmp_gt_i32_e32 vcc, 1, v17
	v_cndmask_b32_e32 v3, v3, v16, vcc
	v_and_b32_e32 v4, 7, v3
	v_cmp_lt_i32_e32 vcc, 5, v4
	v_cmp_eq_u32_e64 s[0:1], 3, v4
	v_lshrrev_b32_e32 v6, 2, v3
	v_cvt_f64_f32_e32 v[3:4], v5
	s_or_b64 vcc, s[0:1], vcc
	v_addc_co_u32_e32 v5, vcc, 0, v6, vcc
	v_mul_f64 v[3:4], v[3:4], s[6:7]
	v_cmp_gt_i32_e32 vcc, 31, v17
	v_cndmask_b32_e32 v5, v2, v5, vcc
	v_cmp_ne_u32_e32 vcc, 0, v7
	v_cndmask_b32_e64 v6, 0, 1, vcc
	v_lshl_or_b32 v6, v6, 9, v2
	v_cmp_eq_u32_e32 vcc, s16, v17
	v_cndmask_b32_e32 v5, v5, v6, vcc
	v_and_or_b32 v3, v4, s14, v3
	v_lshrrev_b32_e32 v6, 16, v8
	v_cmp_ne_u32_e32 vcc, 0, v3
	v_and_or_b32 v5, v6, s17, v5
	v_cndmask_b32_e64 v3, 0, 1, vcc
	v_lshrrev_b32_e32 v6, 8, v4
	v_bfe_u32 v7, v4, 20, 11
	v_and_or_b32 v3, v6, s15, v3
	v_sub_u32_e32 v8, 0x3f1, v7
	v_or_b32_e32 v6, 0x1000, v3
	v_med3_i32 v8, v8, 0, 13
	v_lshrrev_b32_e32 v9, v8, v6
	v_lshlrev_b32_e32 v8, v8, v9
	v_cmp_ne_u32_e32 vcc, v8, v6
	v_cndmask_b32_e64 v6, 0, 1, vcc
	v_add_u32_e32 v7, 0xfffffc10, v7
	v_or_b32_e32 v6, v9, v6
	v_lshl_or_b32 v8, v7, 12, v3
	v_cmp_gt_i32_e32 vcc, 1, v7
	v_cndmask_b32_e32 v6, v8, v6, vcc
	v_and_b32_e32 v8, 7, v6
	v_cmp_lt_i32_e32 vcc, 5, v8
	v_cmp_eq_u32_e64 s[0:1], 3, v8
	v_lshrrev_b32_e32 v6, 2, v6
	s_or_b64 vcc, s[0:1], vcc
	v_addc_co_u32_e32 v6, vcc, 0, v6, vcc
	v_cmp_gt_i32_e32 vcc, 31, v7
	v_cndmask_b32_e32 v6, v2, v6, vcc
	v_cmp_ne_u32_e32 vcc, 0, v3
	v_cndmask_b32_e64 v3, 0, 1, vcc
	v_lshl_or_b32 v2, v3, 9, v2
	v_cmp_eq_u32_e32 vcc, s16, v7
	v_cndmask_b32_e32 v2, v6, v2, vcc
	v_lshrrev_b32_e32 v3, 16, v4
	v_and_or_b32 v2, v3, s17, v2
	v_and_b32_e32 v3, 0xffff, v5
	v_lshl_or_b32 v2, v2, 16, v3
	v_mov_b32_e32 v3, s11
	v_add_co_u32_e32 v0, vcc, s10, v0
	v_addc_co_u32_e32 v1, vcc, v1, v3, vcc
	global_store_dword v[0:1], v2, off
.LBB0_31:
	s_endpgm
	.section	.rodata,"a",@progbits
	.p2align	6, 0x0
	.amdhsa_kernel bluestein_single_back_len1936_dim1_half_op_CI_CI
		.amdhsa_group_segment_fixed_size 7744
		.amdhsa_private_segment_fixed_size 0
		.amdhsa_kernarg_size 104
		.amdhsa_user_sgpr_count 6
		.amdhsa_user_sgpr_private_segment_buffer 1
		.amdhsa_user_sgpr_dispatch_ptr 0
		.amdhsa_user_sgpr_queue_ptr 0
		.amdhsa_user_sgpr_kernarg_segment_ptr 1
		.amdhsa_user_sgpr_dispatch_id 0
		.amdhsa_user_sgpr_flat_scratch_init 0
		.amdhsa_user_sgpr_private_segment_size 0
		.amdhsa_uses_dynamic_stack 0
		.amdhsa_system_sgpr_private_segment_wavefront_offset 0
		.amdhsa_system_sgpr_workgroup_id_x 1
		.amdhsa_system_sgpr_workgroup_id_y 0
		.amdhsa_system_sgpr_workgroup_id_z 0
		.amdhsa_system_sgpr_workgroup_info 0
		.amdhsa_system_vgpr_workitem_id 0
		.amdhsa_next_free_vgpr 104
		.amdhsa_next_free_sgpr 23
		.amdhsa_reserve_vcc 1
		.amdhsa_reserve_flat_scratch 0
		.amdhsa_float_round_mode_32 0
		.amdhsa_float_round_mode_16_64 0
		.amdhsa_float_denorm_mode_32 3
		.amdhsa_float_denorm_mode_16_64 3
		.amdhsa_dx10_clamp 1
		.amdhsa_ieee_mode 1
		.amdhsa_fp16_overflow 0
		.amdhsa_exception_fp_ieee_invalid_op 0
		.amdhsa_exception_fp_denorm_src 0
		.amdhsa_exception_fp_ieee_div_zero 0
		.amdhsa_exception_fp_ieee_overflow 0
		.amdhsa_exception_fp_ieee_underflow 0
		.amdhsa_exception_fp_ieee_inexact 0
		.amdhsa_exception_int_div_zero 0
	.end_amdhsa_kernel
	.text
.Lfunc_end0:
	.size	bluestein_single_back_len1936_dim1_half_op_CI_CI, .Lfunc_end0-bluestein_single_back_len1936_dim1_half_op_CI_CI
                                        ; -- End function
	.section	.AMDGPU.csdata,"",@progbits
; Kernel info:
; codeLenInByte = 22232
; NumSgprs: 27
; NumVgprs: 104
; ScratchSize: 0
; MemoryBound: 0
; FloatMode: 240
; IeeeMode: 1
; LDSByteSize: 7744 bytes/workgroup (compile time only)
; SGPRBlocks: 3
; VGPRBlocks: 25
; NumSGPRsForWavesPerEU: 27
; NumVGPRsForWavesPerEU: 104
; Occupancy: 2
; WaveLimiterHint : 1
; COMPUTE_PGM_RSRC2:SCRATCH_EN: 0
; COMPUTE_PGM_RSRC2:USER_SGPR: 6
; COMPUTE_PGM_RSRC2:TRAP_HANDLER: 0
; COMPUTE_PGM_RSRC2:TGID_X_EN: 1
; COMPUTE_PGM_RSRC2:TGID_Y_EN: 0
; COMPUTE_PGM_RSRC2:TGID_Z_EN: 0
; COMPUTE_PGM_RSRC2:TIDIG_COMP_CNT: 0
	.type	__hip_cuid_d7c2745df8515299,@object ; @__hip_cuid_d7c2745df8515299
	.section	.bss,"aw",@nobits
	.globl	__hip_cuid_d7c2745df8515299
__hip_cuid_d7c2745df8515299:
	.byte	0                               ; 0x0
	.size	__hip_cuid_d7c2745df8515299, 1

	.ident	"AMD clang version 19.0.0git (https://github.com/RadeonOpenCompute/llvm-project roc-6.4.0 25133 c7fe45cf4b819c5991fe208aaa96edf142730f1d)"
	.section	".note.GNU-stack","",@progbits
	.addrsig
	.addrsig_sym __hip_cuid_d7c2745df8515299
	.amdgpu_metadata
---
amdhsa.kernels:
  - .args:
      - .actual_access:  read_only
        .address_space:  global
        .offset:         0
        .size:           8
        .value_kind:     global_buffer
      - .actual_access:  read_only
        .address_space:  global
        .offset:         8
        .size:           8
        .value_kind:     global_buffer
      - .actual_access:  read_only
        .address_space:  global
        .offset:         16
        .size:           8
        .value_kind:     global_buffer
      - .actual_access:  read_only
        .address_space:  global
        .offset:         24
        .size:           8
        .value_kind:     global_buffer
      - .actual_access:  read_only
        .address_space:  global
        .offset:         32
        .size:           8
        .value_kind:     global_buffer
      - .offset:         40
        .size:           8
        .value_kind:     by_value
      - .address_space:  global
        .offset:         48
        .size:           8
        .value_kind:     global_buffer
      - .address_space:  global
        .offset:         56
        .size:           8
        .value_kind:     global_buffer
      - .address_space:  global
        .offset:         64
        .size:           8
        .value_kind:     global_buffer
      - .address_space:  global
        .offset:         72
        .size:           8
        .value_kind:     global_buffer
      - .offset:         80
        .size:           4
        .value_kind:     by_value
      - .address_space:  global
        .offset:         88
        .size:           8
        .value_kind:     global_buffer
      - .address_space:  global
        .offset:         96
        .size:           8
        .value_kind:     global_buffer
    .group_segment_fixed_size: 7744
    .kernarg_segment_align: 8
    .kernarg_segment_size: 104
    .language:       OpenCL C
    .language_version:
      - 2
      - 0
    .max_flat_workgroup_size: 176
    .name:           bluestein_single_back_len1936_dim1_half_op_CI_CI
    .private_segment_fixed_size: 0
    .sgpr_count:     27
    .sgpr_spill_count: 0
    .symbol:         bluestein_single_back_len1936_dim1_half_op_CI_CI.kd
    .uniform_work_group_size: 1
    .uses_dynamic_stack: false
    .vgpr_count:     104
    .vgpr_spill_count: 0
    .wavefront_size: 64
amdhsa.target:   amdgcn-amd-amdhsa--gfx906
amdhsa.version:
  - 1
  - 2
...

	.end_amdgpu_metadata
